;; amdgpu-corpus repo=ROCm/rocFFT kind=compiled arch=gfx1201 opt=O3
	.text
	.amdgcn_target "amdgcn-amd-amdhsa--gfx1201"
	.amdhsa_code_object_version 6
	.protected	fft_rtc_back_len476_factors_17_2_7_2_wgs_102_tpt_34_halfLds_sp_op_CI_CI_sbrr_dirReg ; -- Begin function fft_rtc_back_len476_factors_17_2_7_2_wgs_102_tpt_34_halfLds_sp_op_CI_CI_sbrr_dirReg
	.globl	fft_rtc_back_len476_factors_17_2_7_2_wgs_102_tpt_34_halfLds_sp_op_CI_CI_sbrr_dirReg
	.p2align	8
	.type	fft_rtc_back_len476_factors_17_2_7_2_wgs_102_tpt_34_halfLds_sp_op_CI_CI_sbrr_dirReg,@function
fft_rtc_back_len476_factors_17_2_7_2_wgs_102_tpt_34_halfLds_sp_op_CI_CI_sbrr_dirReg: ; @fft_rtc_back_len476_factors_17_2_7_2_wgs_102_tpt_34_halfLds_sp_op_CI_CI_sbrr_dirReg
; %bb.0:
	s_clause 0x1
	s_load_b128 s[12:15], s[0:1], 0x18
	s_load_b128 s[8:11], s[0:1], 0x0
	v_mul_u32_u24_e32 v1, 0x788, v0
	v_mov_b32_e32 v3, 0
	v_mov_b32_e32 v35, 0
	v_mov_b32_e32 v36, 0
	s_load_b128 s[4:7], s[0:1], 0x58
	s_wait_kmcnt 0x0
	s_load_b64 s[18:19], s[12:13], 0x0
	s_load_b64 s[16:17], s[14:15], 0x0
	v_lshrrev_b32_e32 v1, 16, v1
	v_cmp_lt_u64_e64 s2, s[10:11], 2
	s_delay_alu instid0(VALU_DEP_2) | instskip(SKIP_2) | instid1(VALU_DEP_4)
	v_mad_co_u64_u32 v[33:34], null, ttmp9, 3, v[1:2]
	v_dual_mov_b32 v34, v3 :: v_dual_mov_b32 v1, v35
	v_mov_b32_e32 v2, v36
	s_and_b32 vcc_lo, exec_lo, s2
	s_delay_alu instid0(VALU_DEP_2)
	v_dual_mov_b32 v5, v33 :: v_dual_mov_b32 v6, v34
	s_cbranch_vccnz .LBB0_8
; %bb.1:
	s_load_b64 s[2:3], s[0:1], 0x10
	v_mov_b32_e32 v35, 0
	v_dual_mov_b32 v36, 0 :: v_dual_mov_b32 v7, v33
	s_delay_alu instid0(VALU_DEP_2) | instskip(SKIP_1) | instid1(VALU_DEP_2)
	v_dual_mov_b32 v8, v34 :: v_dual_mov_b32 v1, v35
	s_add_nc_u64 s[20:21], s[14:15], 8
	v_mov_b32_e32 v2, v36
	s_add_nc_u64 s[22:23], s[12:13], 8
	s_mov_b64 s[24:25], 1
	s_wait_kmcnt 0x0
	s_add_nc_u64 s[26:27], s[2:3], 8
	s_mov_b32 s3, 0
.LBB0_2:                                ; =>This Inner Loop Header: Depth=1
	s_load_b64 s[28:29], s[26:27], 0x0
                                        ; implicit-def: $vgpr5_vgpr6
	s_mov_b32 s2, exec_lo
	s_wait_kmcnt 0x0
	v_or_b32_e32 v4, s29, v8
	s_delay_alu instid0(VALU_DEP_1)
	v_cmpx_ne_u64_e32 0, v[3:4]
	s_wait_alu 0xfffe
	s_xor_b32 s30, exec_lo, s2
	s_cbranch_execz .LBB0_4
; %bb.3:                                ;   in Loop: Header=BB0_2 Depth=1
	s_cvt_f32_u32 s2, s28
	s_cvt_f32_u32 s31, s29
	s_sub_nc_u64 s[36:37], 0, s[28:29]
	s_wait_alu 0xfffe
	s_delay_alu instid0(SALU_CYCLE_1) | instskip(SKIP_1) | instid1(SALU_CYCLE_2)
	s_fmamk_f32 s2, s31, 0x4f800000, s2
	s_wait_alu 0xfffe
	v_s_rcp_f32 s2, s2
	s_delay_alu instid0(TRANS32_DEP_1) | instskip(SKIP_1) | instid1(SALU_CYCLE_2)
	s_mul_f32 s2, s2, 0x5f7ffffc
	s_wait_alu 0xfffe
	s_mul_f32 s31, s2, 0x2f800000
	s_wait_alu 0xfffe
	s_delay_alu instid0(SALU_CYCLE_2) | instskip(SKIP_1) | instid1(SALU_CYCLE_2)
	s_trunc_f32 s31, s31
	s_wait_alu 0xfffe
	s_fmamk_f32 s2, s31, 0xcf800000, s2
	s_cvt_u32_f32 s35, s31
	s_wait_alu 0xfffe
	s_delay_alu instid0(SALU_CYCLE_1) | instskip(SKIP_1) | instid1(SALU_CYCLE_2)
	s_cvt_u32_f32 s34, s2
	s_wait_alu 0xfffe
	s_mul_u64 s[38:39], s[36:37], s[34:35]
	s_wait_alu 0xfffe
	s_mul_hi_u32 s41, s34, s39
	s_mul_i32 s40, s34, s39
	s_mul_hi_u32 s2, s34, s38
	s_mul_i32 s33, s35, s38
	s_wait_alu 0xfffe
	s_add_nc_u64 s[40:41], s[2:3], s[40:41]
	s_mul_hi_u32 s31, s35, s38
	s_mul_hi_u32 s42, s35, s39
	s_add_co_u32 s2, s40, s33
	s_wait_alu 0xfffe
	s_add_co_ci_u32 s2, s41, s31
	s_mul_i32 s38, s35, s39
	s_add_co_ci_u32 s39, s42, 0
	s_wait_alu 0xfffe
	s_add_nc_u64 s[38:39], s[2:3], s[38:39]
	s_wait_alu 0xfffe
	v_add_co_u32 v4, s2, s34, s38
	s_delay_alu instid0(VALU_DEP_1) | instskip(SKIP_1) | instid1(VALU_DEP_1)
	s_cmp_lg_u32 s2, 0
	s_add_co_ci_u32 s35, s35, s39
	v_readfirstlane_b32 s34, v4
	s_wait_alu 0xfffe
	s_delay_alu instid0(VALU_DEP_1)
	s_mul_u64 s[36:37], s[36:37], s[34:35]
	s_wait_alu 0xfffe
	s_mul_hi_u32 s39, s34, s37
	s_mul_i32 s38, s34, s37
	s_mul_hi_u32 s2, s34, s36
	s_mul_i32 s33, s35, s36
	s_wait_alu 0xfffe
	s_add_nc_u64 s[38:39], s[2:3], s[38:39]
	s_mul_hi_u32 s31, s35, s36
	s_mul_hi_u32 s34, s35, s37
	s_wait_alu 0xfffe
	s_add_co_u32 s2, s38, s33
	s_add_co_ci_u32 s2, s39, s31
	s_mul_i32 s36, s35, s37
	s_add_co_ci_u32 s37, s34, 0
	s_wait_alu 0xfffe
	s_add_nc_u64 s[36:37], s[2:3], s[36:37]
	s_wait_alu 0xfffe
	v_add_co_u32 v6, s2, v4, s36
	s_delay_alu instid0(VALU_DEP_1) | instskip(SKIP_1) | instid1(VALU_DEP_1)
	s_cmp_lg_u32 s2, 0
	s_add_co_ci_u32 s2, s35, s37
	v_mul_hi_u32 v13, v7, v6
	s_wait_alu 0xfffe
	v_mad_co_u64_u32 v[4:5], null, v7, s2, 0
	v_mad_co_u64_u32 v[9:10], null, v8, v6, 0
	;; [unrolled: 1-line block ×3, first 2 shown]
	s_delay_alu instid0(VALU_DEP_3) | instskip(SKIP_1) | instid1(VALU_DEP_4)
	v_add_co_u32 v4, vcc_lo, v13, v4
	s_wait_alu 0xfffd
	v_add_co_ci_u32_e32 v5, vcc_lo, 0, v5, vcc_lo
	s_delay_alu instid0(VALU_DEP_2) | instskip(SKIP_1) | instid1(VALU_DEP_2)
	v_add_co_u32 v4, vcc_lo, v4, v9
	s_wait_alu 0xfffd
	v_add_co_ci_u32_e32 v4, vcc_lo, v5, v10, vcc_lo
	s_wait_alu 0xfffd
	v_add_co_ci_u32_e32 v5, vcc_lo, 0, v12, vcc_lo
	s_delay_alu instid0(VALU_DEP_2) | instskip(SKIP_1) | instid1(VALU_DEP_2)
	v_add_co_u32 v9, vcc_lo, v4, v11
	s_wait_alu 0xfffd
	v_add_co_ci_u32_e32 v6, vcc_lo, 0, v5, vcc_lo
	s_delay_alu instid0(VALU_DEP_2) | instskip(SKIP_1) | instid1(VALU_DEP_3)
	v_mul_lo_u32 v10, s29, v9
	v_mad_co_u64_u32 v[4:5], null, s28, v9, 0
	v_mul_lo_u32 v11, s28, v6
	s_delay_alu instid0(VALU_DEP_2) | instskip(NEXT) | instid1(VALU_DEP_2)
	v_sub_co_u32 v4, vcc_lo, v7, v4
	v_add3_u32 v5, v5, v11, v10
	s_delay_alu instid0(VALU_DEP_1) | instskip(SKIP_1) | instid1(VALU_DEP_1)
	v_sub_nc_u32_e32 v10, v8, v5
	s_wait_alu 0xfffd
	v_subrev_co_ci_u32_e64 v10, s2, s29, v10, vcc_lo
	v_add_co_u32 v11, s2, v9, 2
	s_wait_alu 0xf1ff
	v_add_co_ci_u32_e64 v12, s2, 0, v6, s2
	v_sub_co_u32 v13, s2, v4, s28
	v_sub_co_ci_u32_e32 v5, vcc_lo, v8, v5, vcc_lo
	s_wait_alu 0xf1ff
	v_subrev_co_ci_u32_e64 v10, s2, 0, v10, s2
	s_delay_alu instid0(VALU_DEP_3) | instskip(NEXT) | instid1(VALU_DEP_3)
	v_cmp_le_u32_e32 vcc_lo, s28, v13
	v_cmp_eq_u32_e64 s2, s29, v5
	s_wait_alu 0xfffd
	v_cndmask_b32_e64 v13, 0, -1, vcc_lo
	v_cmp_le_u32_e32 vcc_lo, s29, v10
	s_wait_alu 0xfffd
	v_cndmask_b32_e64 v14, 0, -1, vcc_lo
	v_cmp_le_u32_e32 vcc_lo, s28, v4
	;; [unrolled: 3-line block ×3, first 2 shown]
	s_wait_alu 0xfffd
	v_cndmask_b32_e64 v15, 0, -1, vcc_lo
	v_cmp_eq_u32_e32 vcc_lo, s29, v10
	s_wait_alu 0xf1ff
	s_delay_alu instid0(VALU_DEP_2)
	v_cndmask_b32_e64 v4, v15, v4, s2
	s_wait_alu 0xfffd
	v_cndmask_b32_e32 v10, v14, v13, vcc_lo
	v_add_co_u32 v13, vcc_lo, v9, 1
	s_wait_alu 0xfffd
	v_add_co_ci_u32_e32 v14, vcc_lo, 0, v6, vcc_lo
	s_delay_alu instid0(VALU_DEP_3) | instskip(SKIP_1) | instid1(VALU_DEP_2)
	v_cmp_ne_u32_e32 vcc_lo, 0, v10
	s_wait_alu 0xfffd
	v_dual_cndmask_b32 v5, v14, v12 :: v_dual_cndmask_b32 v10, v13, v11
	v_cmp_ne_u32_e32 vcc_lo, 0, v4
	s_wait_alu 0xfffd
	s_delay_alu instid0(VALU_DEP_2)
	v_dual_cndmask_b32 v6, v6, v5 :: v_dual_cndmask_b32 v5, v9, v10
.LBB0_4:                                ;   in Loop: Header=BB0_2 Depth=1
	s_wait_alu 0xfffe
	s_and_not1_saveexec_b32 s2, s30
	s_cbranch_execz .LBB0_6
; %bb.5:                                ;   in Loop: Header=BB0_2 Depth=1
	v_cvt_f32_u32_e32 v4, s28
	s_sub_co_i32 s30, 0, s28
	s_delay_alu instid0(VALU_DEP_1) | instskip(NEXT) | instid1(TRANS32_DEP_1)
	v_rcp_iflag_f32_e32 v4, v4
	v_mul_f32_e32 v4, 0x4f7ffffe, v4
	s_delay_alu instid0(VALU_DEP_1) | instskip(SKIP_1) | instid1(VALU_DEP_1)
	v_cvt_u32_f32_e32 v4, v4
	s_wait_alu 0xfffe
	v_mul_lo_u32 v5, s30, v4
	s_delay_alu instid0(VALU_DEP_1) | instskip(NEXT) | instid1(VALU_DEP_1)
	v_mul_hi_u32 v5, v4, v5
	v_add_nc_u32_e32 v4, v4, v5
	s_delay_alu instid0(VALU_DEP_1) | instskip(NEXT) | instid1(VALU_DEP_1)
	v_mul_hi_u32 v4, v7, v4
	v_mul_lo_u32 v5, v4, s28
	v_add_nc_u32_e32 v6, 1, v4
	s_delay_alu instid0(VALU_DEP_2) | instskip(NEXT) | instid1(VALU_DEP_1)
	v_sub_nc_u32_e32 v5, v7, v5
	v_subrev_nc_u32_e32 v9, s28, v5
	v_cmp_le_u32_e32 vcc_lo, s28, v5
	s_wait_alu 0xfffd
	s_delay_alu instid0(VALU_DEP_2) | instskip(NEXT) | instid1(VALU_DEP_1)
	v_dual_cndmask_b32 v5, v5, v9 :: v_dual_cndmask_b32 v4, v4, v6
	v_cmp_le_u32_e32 vcc_lo, s28, v5
	s_delay_alu instid0(VALU_DEP_2) | instskip(SKIP_1) | instid1(VALU_DEP_1)
	v_add_nc_u32_e32 v6, 1, v4
	s_wait_alu 0xfffd
	v_dual_cndmask_b32 v5, v4, v6 :: v_dual_mov_b32 v6, v3
.LBB0_6:                                ;   in Loop: Header=BB0_2 Depth=1
	s_wait_alu 0xfffe
	s_or_b32 exec_lo, exec_lo, s2
	s_delay_alu instid0(VALU_DEP_1) | instskip(NEXT) | instid1(VALU_DEP_2)
	v_mul_lo_u32 v4, v6, s28
	v_mul_lo_u32 v11, v5, s29
	s_load_b64 s[30:31], s[22:23], 0x0
	v_mad_co_u64_u32 v[9:10], null, v5, s28, 0
	s_load_b64 s[28:29], s[20:21], 0x0
	s_add_nc_u64 s[24:25], s[24:25], 1
	s_add_nc_u64 s[20:21], s[20:21], 8
	s_wait_alu 0xfffe
	v_cmp_ge_u64_e64 s2, s[24:25], s[10:11]
	s_add_nc_u64 s[22:23], s[22:23], 8
	s_add_nc_u64 s[26:27], s[26:27], 8
	v_add3_u32 v4, v10, v11, v4
	v_sub_co_u32 v7, vcc_lo, v7, v9
	s_wait_alu 0xfffd
	s_delay_alu instid0(VALU_DEP_2) | instskip(SKIP_2) | instid1(VALU_DEP_1)
	v_sub_co_ci_u32_e32 v4, vcc_lo, v8, v4, vcc_lo
	s_and_b32 vcc_lo, exec_lo, s2
	s_wait_kmcnt 0x0
	v_mul_lo_u32 v8, s30, v4
	v_mul_lo_u32 v9, s31, v7
	v_mad_co_u64_u32 v[35:36], null, s30, v7, v[35:36]
	v_mul_lo_u32 v4, s28, v4
	v_mul_lo_u32 v10, s29, v7
	v_mad_co_u64_u32 v[1:2], null, s28, v7, v[1:2]
	s_delay_alu instid0(VALU_DEP_4) | instskip(NEXT) | instid1(VALU_DEP_2)
	v_add3_u32 v36, v9, v36, v8
	v_add3_u32 v2, v10, v2, v4
	s_wait_alu 0xfffe
	s_cbranch_vccnz .LBB0_8
; %bb.7:                                ;   in Loop: Header=BB0_2 Depth=1
	v_dual_mov_b32 v8, v6 :: v_dual_mov_b32 v7, v5
	s_branch .LBB0_2
.LBB0_8:
	s_load_b64 s[0:1], s[0:1], 0x28
	v_mul_hi_u32 v3, 0x7878788, v0
	v_dual_mov_b32 v26, 0 :: v_dual_mov_b32 v25, 0
	s_lshl_b64 s[2:3], s[10:11], 3
                                        ; implicit-def: $vgpr38
                                        ; implicit-def: $vgpr30
                                        ; implicit-def: $vgpr22
                                        ; implicit-def: $vgpr24
                                        ; implicit-def: $vgpr18
                                        ; implicit-def: $vgpr14
                                        ; implicit-def: $vgpr8
                                        ; implicit-def: $vgpr10
                                        ; implicit-def: $vgpr12
                                        ; implicit-def: $vgpr16
                                        ; implicit-def: $vgpr20
                                        ; implicit-def: $vgpr28
                                        ; implicit-def: $vgpr50
                                        ; implicit-def: $vgpr52
                                        ; implicit-def: $vgpr48
                                        ; implicit-def: $vgpr32
	s_delay_alu instid0(VALU_DEP_2) | instskip(NEXT) | instid1(VALU_DEP_1)
	v_mul_u32_u24_e32 v3, 34, v3
	v_sub_nc_u32_e32 v3, v0, v3
	s_wait_kmcnt 0x0
	v_cmp_gt_u64_e32 vcc_lo, s[0:1], v[5:6]
	s_delay_alu instid0(VALU_DEP_2) | instskip(NEXT) | instid1(VALU_DEP_1)
	v_cmp_gt_u32_e64 s0, 28, v3
	s_and_b32 s1, vcc_lo, s0
	s_wait_alu 0xfffe
	s_and_saveexec_b32 s10, s1
	s_cbranch_execz .LBB0_10
; %bb.9:
	s_add_nc_u64 s[12:13], s[12:13], s[2:3]
	v_mad_co_u64_u32 v[7:8], null, s18, v3, 0
	s_load_b64 s[12:13], s[12:13], 0x0
	v_add_nc_u32_e32 v21, 28, v3
	v_add_nc_u32_e32 v22, 56, v3
	v_lshlrev_b64_e32 v[9:10], 3, v[35:36]
	v_add_nc_u32_e32 v24, 0x70, v3
	v_or_b32_e32 v27, 0xe0, v3
	v_mov_b32_e32 v0, v8
	v_mad_co_u64_u32 v[11:12], null, s18, v21, 0
	v_add_nc_u32_e32 v23, 0x54, v3
	v_mad_co_u64_u32 v[13:14], null, s18, v22, 0
	s_delay_alu instid0(VALU_DEP_4)
	v_mad_co_u64_u32 v[19:20], null, s19, v3, v[0:1]
	v_add_nc_u32_e32 v36, 0x118, v3
	v_mov_b32_e32 v4, v12
	v_mad_co_u64_u32 v[15:16], null, s18, v23, 0
	v_mov_b32_e32 v0, v14
	v_add_nc_u32_e32 v44, 0x188, v3
	s_wait_kmcnt 0x0
	v_mul_lo_u32 v8, s13, v5
	v_mul_lo_u32 v25, s12, v6
	v_mad_co_u64_u32 v[17:18], null, s12, v5, 0
	v_dual_mov_b32 v12, v16 :: v_dual_add_nc_u32 v47, 0x1a4, v3
	v_mad_co_u64_u32 v[20:21], null, s19, v21, v[4:5]
	v_mad_co_u64_u32 v[39:40], null, s18, v44, 0
	s_delay_alu instid0(VALU_DEP_4) | instskip(SKIP_1) | instid1(VALU_DEP_2)
	v_add3_u32 v18, v18, v25, v8
	v_mov_b32_e32 v8, v19
	v_lshlrev_b64_e32 v[16:17], 3, v[17:18]
	v_mad_co_u64_u32 v[18:19], null, s19, v23, v[12:13]
	v_add_nc_u32_e32 v23, 0xa8, v3
	v_mad_co_u64_u32 v[21:22], null, s19, v22, v[0:1]
	s_delay_alu instid0(VALU_DEP_4) | instskip(SKIP_3) | instid1(VALU_DEP_3)
	v_add_co_u32 v0, s1, s4, v16
	s_wait_alu 0xf1ff
	v_add_co_ci_u32_e64 v4, s1, s5, v17, s1
	v_add_nc_u32_e32 v22, 0x8c, v3
	v_add_co_u32 v48, s1, v0, v9
	v_mov_b32_e32 v14, v21
	s_wait_alu 0xf1ff
	v_add_co_ci_u32_e64 v49, s1, v4, v10, s1
	v_mov_b32_e32 v12, v20
	v_lshlrev_b64_e32 v[7:8], 3, v[7:8]
	v_lshlrev_b64_e32 v[9:10], 3, v[13:14]
	v_mad_co_u64_u32 v[13:14], null, s18, v24, 0
	v_mad_co_u64_u32 v[19:20], null, s18, v22, 0
	v_lshlrev_b64_e32 v[11:12], 3, v[11:12]
	v_mov_b32_e32 v16, v18
	v_add_co_u32 v7, s1, v48, v7
	v_mov_b32_e32 v0, v14
	s_wait_alu 0xf1ff
	v_add_co_ci_u32_e64 v8, s1, v49, v8, s1
	v_add_co_u32 v11, s1, v48, v11
	v_mov_b32_e32 v4, v20
	v_lshlrev_b64_e32 v[14:15], 3, v[15:16]
	v_mad_co_u64_u32 v[16:17], null, s19, v24, v[0:1]
	s_wait_alu 0xf1ff
	v_add_co_ci_u32_e64 v12, s1, v49, v12, s1
	v_add_co_u32 v9, s1, v48, v9
	s_wait_alu 0xf1ff
	v_add_co_ci_u32_e64 v10, s1, v49, v10, s1
	v_mad_co_u64_u32 v[17:18], null, s19, v22, v[4:5]
	v_add_co_u32 v21, s1, v48, v14
	s_wait_alu 0xf1ff
	v_add_co_ci_u32_e64 v22, s1, v49, v15, s1
	v_mov_b32_e32 v14, v16
	v_add_nc_u32_e32 v24, 0xc4, v3
	v_mad_co_u64_u32 v[15:16], null, s18, v23, 0
	v_mov_b32_e32 v20, v17
	s_clause 0x3
	global_load_b64 v[25:26], v[7:8], off
	global_load_b64 v[37:38], v[11:12], off
	;; [unrolled: 1-line block ×4, first 2 shown]
	v_mad_co_u64_u32 v[17:18], null, s18, v24, 0
	v_lshlrev_b64_e32 v[7:8], 3, v[13:14]
	v_lshlrev_b64_e32 v[9:10], 3, v[19:20]
	v_mov_b32_e32 v0, v16
	v_mad_co_u64_u32 v[19:20], null, s18, v27, 0
	v_mov_b32_e32 v4, v18
	s_delay_alu instid0(VALU_DEP_3) | instskip(SKIP_1) | instid1(VALU_DEP_3)
	v_mad_co_u64_u32 v[11:12], null, s19, v23, v[0:1]
	v_add_co_u32 v7, s1, v48, v7
	v_mad_co_u64_u32 v[12:13], null, s19, v24, v[4:5]
	v_mov_b32_e32 v0, v20
	v_add_nc_u32_e32 v4, 0xfc, v3
	v_mov_b32_e32 v16, v11
	s_wait_alu 0xf1ff
	v_add_co_ci_u32_e64 v8, s1, v49, v8, s1
	v_add_co_u32 v9, s1, v48, v9
	v_mov_b32_e32 v18, v12
	v_lshlrev_b64_e32 v[11:12], 3, v[15:16]
	v_mad_co_u64_u32 v[15:16], null, s19, v27, v[0:1]
	v_mad_co_u64_u32 v[27:28], null, s18, v4, 0
	s_delay_alu instid0(VALU_DEP_4)
	v_lshlrev_b64_e32 v[13:14], 3, v[17:18]
	s_wait_alu 0xf1ff
	v_add_co_ci_u32_e64 v10, s1, v49, v10, s1
	v_add_co_u32 v11, s1, v48, v11
	v_mov_b32_e32 v20, v15
	v_mov_b32_e32 v0, v28
	v_mad_co_u64_u32 v[15:16], null, s18, v36, 0
	s_wait_alu 0xf1ff
	v_add_co_ci_u32_e64 v12, s1, v49, v12, s1
	s_delay_alu instid0(VALU_DEP_3)
	v_mad_co_u64_u32 v[34:35], null, s19, v4, v[0:1]
	v_add_nc_u32_e32 v4, 0x134, v3
	v_add_co_u32 v31, s1, v48, v13
	s_wait_alu 0xf1ff
	v_add_co_ci_u32_e64 v32, s1, v49, v14, s1
	s_clause 0x3
	global_load_b64 v[23:24], v[7:8], off
	global_load_b64 v[17:18], v[9:10], off
	;; [unrolled: 1-line block ×4, first 2 shown]
	v_mov_b32_e32 v0, v16
	v_mad_co_u64_u32 v[11:12], null, s18, v4, 0
	v_lshlrev_b64_e32 v[9:10], 3, v[19:20]
	v_mov_b32_e32 v28, v34
	s_delay_alu instid0(VALU_DEP_4) | instskip(SKIP_2) | instid1(VALU_DEP_4)
	v_mad_co_u64_u32 v[19:20], null, s19, v36, v[0:1]
	v_add_nc_u32_e32 v36, 0x150, v3
	v_mov_b32_e32 v0, v12
	v_lshlrev_b64_e32 v[27:28], 3, v[27:28]
	v_add_co_u32 v9, s1, v48, v9
	v_mov_b32_e32 v16, v19
	s_delay_alu instid0(VALU_DEP_4) | instskip(SKIP_2) | instid1(VALU_DEP_4)
	v_mad_co_u64_u32 v[19:20], null, s19, v4, v[0:1]
	v_mad_co_u64_u32 v[31:32], null, s18, v36, 0
	v_add_nc_u32_e32 v4, 0x16c, v3
	v_lshlrev_b64_e32 v[15:16], 3, v[15:16]
	s_wait_alu 0xf1ff
	v_add_co_ci_u32_e64 v10, s1, v49, v10, s1
	v_mov_b32_e32 v12, v19
	v_mad_co_u64_u32 v[34:35], null, s18, v4, 0
	v_mov_b32_e32 v0, v32
	v_add_co_u32 v27, s1, v48, v27
	s_delay_alu instid0(VALU_DEP_4)
	v_lshlrev_b64_e32 v[11:12], 3, v[11:12]
	s_wait_alu 0xf1ff
	v_add_co_ci_u32_e64 v28, s1, v49, v28, s1
	v_mad_co_u64_u32 v[19:20], null, s19, v36, v[0:1]
	v_mov_b32_e32 v0, v35
	v_add_co_u32 v15, s1, v48, v15
	s_wait_alu 0xf1ff
	v_add_co_ci_u32_e64 v16, s1, v49, v16, s1
	s_delay_alu instid0(VALU_DEP_3)
	v_mad_co_u64_u32 v[41:42], null, s19, v4, v[0:1]
	v_mad_co_u64_u32 v[42:43], null, s18, v47, 0
	v_mov_b32_e32 v0, v40
	v_or_b32_e32 v4, 0x1c0, v3
	v_mov_b32_e32 v32, v19
	v_add_co_u32 v35, s1, v48, v11
	s_delay_alu instid0(VALU_DEP_4) | instskip(NEXT) | instid1(VALU_DEP_4)
	v_mad_co_u64_u32 v[44:45], null, s19, v44, v[0:1]
	v_mad_co_u64_u32 v[45:46], null, s18, v4, 0
	v_mov_b32_e32 v0, v43
	s_wait_alu 0xf1ff
	v_add_co_ci_u32_e64 v36, s1, v49, v12, s1
	s_clause 0x3
	global_load_b64 v[9:10], v[9:10], off
	global_load_b64 v[11:12], v[27:28], off
	;; [unrolled: 1-line block ×4, first 2 shown]
	v_lshlrev_b64_e32 v[27:28], 3, v[31:32]
	v_mov_b32_e32 v35, v41
	v_mad_co_u64_u32 v[31:32], null, s19, v47, v[0:1]
	v_mov_b32_e32 v0, v46
	v_mov_b32_e32 v40, v44
	s_delay_alu instid0(VALU_DEP_4) | instskip(SKIP_1) | instid1(VALU_DEP_4)
	v_lshlrev_b64_e32 v[34:35], 3, v[34:35]
	v_add_co_u32 v27, s1, v48, v27
	v_mad_co_u64_u32 v[46:47], null, s19, v4, v[0:1]
	v_mov_b32_e32 v43, v31
	s_wait_alu 0xf1ff
	v_add_co_ci_u32_e64 v28, s1, v49, v28, s1
	v_lshlrev_b64_e32 v[39:40], 3, v[39:40]
	v_add_co_u32 v31, s1, v48, v34
	s_wait_alu 0xf1ff
	v_add_co_ci_u32_e64 v32, s1, v49, v35, s1
	v_lshlrev_b64_e32 v[34:35], 3, v[42:43]
	s_delay_alu instid0(VALU_DEP_4) | instskip(SKIP_3) | instid1(VALU_DEP_4)
	v_add_co_u32 v39, s1, v48, v39
	v_lshlrev_b64_e32 v[41:42], 3, v[45:46]
	s_wait_alu 0xf1ff
	v_add_co_ci_u32_e64 v40, s1, v49, v40, s1
	v_add_co_u32 v34, s1, v48, v34
	s_wait_alu 0xf1ff
	v_add_co_ci_u32_e64 v35, s1, v49, v35, s1
	v_add_co_u32 v41, s1, v48, v41
	s_wait_alu 0xf1ff
	v_add_co_ci_u32_e64 v42, s1, v49, v42, s1
	s_clause 0x4
	global_load_b64 v[27:28], v[27:28], off
	global_load_b64 v[31:32], v[31:32], off
	;; [unrolled: 1-line block ×5, first 2 shown]
.LBB0_10:
	s_wait_alu 0xfffe
	s_or_b32 exec_lo, exec_lo, s10
	v_mul_hi_u32 v0, 0xaaaaaaab, v33
	s_delay_alu instid0(VALU_DEP_1) | instskip(NEXT) | instid1(VALU_DEP_1)
	v_lshrrev_b32_e32 v0, 1, v0
	v_lshl_add_u32 v0, v0, 1, v0
	s_delay_alu instid0(VALU_DEP_1) | instskip(NEXT) | instid1(VALU_DEP_1)
	v_sub_nc_u32_e32 v0, v33, v0
	v_mul_u32_u24_e32 v0, 0x1dc, v0
	s_delay_alu instid0(VALU_DEP_1)
	v_lshlrev_b32_e32 v4, 2, v0
	s_and_saveexec_b32 s1, s0
	s_cbranch_execz .LBB0_12
; %bb.11:
	s_wait_loadcnt 0x0
	v_dual_add_f32 v42, v37, v49 :: v_dual_sub_f32 v35, v22, v48
	v_dual_sub_f32 v36, v38, v50 :: v_dual_add_f32 v45, v29, v51
	v_dual_sub_f32 v34, v30, v52 :: v_dual_add_f32 v43, v21, v47
	s_delay_alu instid0(VALU_DEP_3) | instskip(NEXT) | instid1(VALU_DEP_3)
	v_dual_mul_f32 v55, 0xbf7ba420, v42 :: v_dual_sub_f32 v0, v24, v32
	v_dual_add_f32 v41, v23, v31 :: v_dual_mul_f32 v56, 0x3f6eb680, v45
	s_delay_alu instid0(VALU_DEP_2) | instskip(NEXT) | instid1(VALU_DEP_4)
	v_dual_add_f32 v44, v17, v27 :: v_dual_fmamk_f32 v39, v36, 0x3e3c28d5, v55
	v_mul_f32_e32 v57, 0xbf59a7d5, v43
	v_dual_sub_f32 v33, v18, v28 :: v_dual_add_f32 v46, v13, v19
	s_delay_alu instid0(VALU_DEP_3) | instskip(SKIP_2) | instid1(VALU_DEP_3)
	v_dual_fmamk_f32 v40, v34, 0xbeb8f4ab, v56 :: v_dual_add_f32 v53, v25, v39
	v_dual_sub_f32 v39, v14, v20 :: v_dual_mul_f32 v58, 0x3f3d2fb0, v41
	v_fmac_f32_e32 v55, 0xbe3c28d5, v36
	v_dual_mul_f32 v62, 0x3ee437d1, v46 :: v_dual_add_f32 v59, v53, v40
	v_sub_f32_e32 v40, v8, v16
	s_delay_alu instid0(VALU_DEP_3) | instskip(SKIP_2) | instid1(VALU_DEP_3)
	v_dual_fmamk_f32 v54, v35, 0x3f06c442, v57 :: v_dual_add_f32 v55, v25, v55
	v_fmamk_f32 v61, v0, 0xbf2c7751, v58
	v_dual_add_f32 v53, v7, v15 :: v_dual_mul_f32 v60, 0xbf1a4643, v44
	v_dual_add_f32 v59, v59, v54 :: v_dual_add_f32 v54, v9, v11
	v_fmac_f32_e32 v56, 0x3eb8f4ab, v34
	v_fmac_f32_e32 v57, 0xbf06c442, v35
	v_fmamk_f32 v64, v39, 0xbf65296c, v62
	s_delay_alu instid0(VALU_DEP_4) | instskip(NEXT) | instid1(VALU_DEP_4)
	v_add_f32_e32 v59, v59, v61
	v_dual_mul_f32 v72, 0x3ee437d1, v41 :: v_dual_add_f32 v55, v55, v56
	v_fmac_f32_e32 v58, 0x3f2c7751, v0
	v_mul_f32_e32 v74, 0xbf1a4643, v45
	v_mul_f32_e32 v76, 0xbe8c1d8e, v46
	s_delay_alu instid0(VALU_DEP_4) | instskip(SKIP_3) | instid1(VALU_DEP_4)
	v_dual_mul_f32 v66, 0x3dbcf732, v43 :: v_dual_add_f32 v55, v55, v57
	v_fmamk_f32 v63, v33, 0x3f4c4adb, v60
	v_mul_f32_e32 v57, 0x3dbcf732, v54
	v_fmac_f32_e32 v60, 0xbf4c4adb, v33
	v_dual_mul_f32 v69, 0x3f6eb680, v43 :: v_dual_add_f32 v58, v55, v58
	s_delay_alu instid0(VALU_DEP_4) | instskip(SKIP_2) | instid1(VALU_DEP_4)
	v_add_f32_e32 v59, v63, v59
	v_mul_f32_e32 v63, 0xbf59a7d5, v42
	v_sub_f32_e32 v55, v10, v12
	v_dual_mul_f32 v71, 0x3f3d2fb0, v43 :: v_dual_add_f32 v58, v60, v58
	s_delay_alu instid0(VALU_DEP_4) | instskip(NEXT) | instid1(VALU_DEP_4)
	v_add_f32_e32 v59, v64, v59
	v_fmamk_f32 v64, v36, 0x3f06c442, v63
	s_delay_alu instid0(VALU_DEP_4) | instskip(SKIP_4) | instid1(VALU_DEP_4)
	v_fmamk_f32 v60, v55, 0xbf7ee86f, v57
	v_mul_f32_e32 v61, 0xbe8c1d8e, v53
	v_fmac_f32_e32 v57, 0x3f7ee86f, v55
	v_fmac_f32_e32 v62, 0x3f65296c, v39
	v_add_f32_e32 v64, v25, v64
	v_fmamk_f32 v56, v40, 0x3f763a35, v61
	s_delay_alu instid0(VALU_DEP_3) | instskip(NEXT) | instid1(VALU_DEP_2)
	v_add_f32_e32 v58, v62, v58
	v_dual_add_f32 v56, v56, v59 :: v_dual_mul_f32 v59, 0x3ee437d1, v45
	s_delay_alu instid0(VALU_DEP_1) | instskip(NEXT) | instid1(VALU_DEP_1)
	v_dual_add_f32 v56, v60, v56 :: v_dual_fmamk_f32 v65, v34, 0xbf65296c, v59
	v_dual_fmac_f32 v59, 0x3f65296c, v34 :: v_dual_add_f32 v64, v64, v65
	v_fmac_f32_e32 v61, 0xbf763a35, v40
	v_fmamk_f32 v65, v35, 0x3f7ee86f, v66
	v_fmac_f32_e32 v63, 0xbf06c442, v36
	v_fmac_f32_e32 v66, 0xbf7ee86f, v35
	s_delay_alu instid0(VALU_DEP_4) | instskip(NEXT) | instid1(VALU_DEP_4)
	v_add_f32_e32 v58, v61, v58
	v_add_f32_e32 v60, v64, v65
	v_mul_f32_e32 v67, 0xbf1a4643, v41
	v_mul_f32_e32 v64, 0x3f6eb680, v44
	;; [unrolled: 1-line block ×3, first 2 shown]
	s_delay_alu instid0(VALU_DEP_3) | instskip(NEXT) | instid1(VALU_DEP_3)
	v_fmamk_f32 v62, v0, 0xbf4c4adb, v67
	v_fmamk_f32 v61, v33, 0x3eb8f4ab, v64
	s_delay_alu instid0(VALU_DEP_3) | instskip(SKIP_1) | instid1(VALU_DEP_4)
	v_fmamk_f32 v68, v40, 0xbf2c7751, v65
	v_fmac_f32_e32 v64, 0xbeb8f4ab, v33
	v_add_f32_e32 v60, v60, v62
	v_mul_f32_e32 v62, 0xbf7ba420, v46
	v_fmac_f32_e32 v67, 0x3f4c4adb, v0
	s_delay_alu instid0(VALU_DEP_3) | instskip(SKIP_1) | instid1(VALU_DEP_4)
	v_add_f32_e32 v60, v61, v60
	v_add_f32_e32 v57, v57, v58
	v_dual_add_f32 v58, v25, v63 :: v_dual_fmamk_f32 v61, v39, 0x3e3c28d5, v62
	s_delay_alu instid0(VALU_DEP_1) | instskip(NEXT) | instid1(VALU_DEP_1)
	v_dual_add_f32 v58, v58, v59 :: v_dual_add_f32 v59, v61, v60
	v_dual_mul_f32 v61, 0xbe8c1d8e, v45 :: v_dual_add_f32 v58, v58, v66
	v_mul_f32_e32 v63, 0xbf1a4643, v42
	s_delay_alu instid0(VALU_DEP_3) | instskip(NEXT) | instid1(VALU_DEP_3)
	v_dual_add_f32 v59, v68, v59 :: v_dual_mul_f32 v68, 0xbe8c1d8e, v54
	v_fmamk_f32 v66, v34, 0xbf763a35, v61
	s_delay_alu instid0(VALU_DEP_4) | instskip(NEXT) | instid1(VALU_DEP_3)
	v_dual_add_f32 v58, v58, v67 :: v_dual_fmac_f32 v61, 0x3f763a35, v34
	v_fmamk_f32 v70, v55, 0x3f763a35, v68
	v_fmamk_f32 v60, v36, 0x3f4c4adb, v63
	v_fmac_f32_e32 v63, 0xbf4c4adb, v36
	s_delay_alu instid0(VALU_DEP_2) | instskip(NEXT) | instid1(VALU_DEP_1)
	v_dual_add_f32 v59, v70, v59 :: v_dual_add_f32 v60, v25, v60
	v_dual_add_f32 v63, v25, v63 :: v_dual_add_f32 v60, v60, v66
	v_fmamk_f32 v66, v35, 0x3eb8f4ab, v69
	v_mul_f32_e32 v67, 0xbf59a7d5, v41
	s_delay_alu instid0(VALU_DEP_3) | instskip(SKIP_2) | instid1(VALU_DEP_4)
	v_add_f32_e32 v61, v63, v61
	v_dual_fmac_f32 v69, 0xbeb8f4ab, v35 :: v_dual_add_f32 v58, v64, v58
	v_fmac_f32_e32 v65, 0x3f2c7751, v40
	v_fmamk_f32 v64, v0, 0x3f06c442, v67
	v_fmac_f32_e32 v67, 0xbf06c442, v0
	s_delay_alu instid0(VALU_DEP_4) | instskip(SKIP_1) | instid1(VALU_DEP_2)
	v_add_f32_e32 v61, v61, v69
	v_mul_f32_e32 v63, 0xbf59a7d5, v45
	v_add_f32_e32 v61, v61, v67
	v_fmac_f32_e32 v62, 0xbe3c28d5, v39
	v_add_f32_e32 v60, v60, v66
	v_mul_f32_e32 v66, 0x3dbcf732, v44
	v_fmamk_f32 v69, v34, 0xbf06c442, v63
	v_fmac_f32_e32 v63, 0x3f06c442, v34
	v_add_f32_e32 v58, v62, v58
	v_add_f32_e32 v60, v60, v64
	v_fmamk_f32 v62, v33, 0xbf7ee86f, v66
	v_mul_f32_e32 v64, 0x3f3d2fb0, v46
	v_fmac_f32_e32 v66, 0x3f7ee86f, v33
	v_dual_add_f32 v58, v65, v58 :: v_dual_mul_f32 v65, 0xbf7ba420, v53
	s_delay_alu instid0(VALU_DEP_4) | instskip(NEXT) | instid1(VALU_DEP_3)
	v_add_f32_e32 v60, v62, v60
	v_dual_fmamk_f32 v62, v39, 0x3f2c7751, v64 :: v_dual_add_f32 v61, v66, v61
	v_fmac_f32_e32 v64, 0xbf2c7751, v39
	v_fmamk_f32 v66, v0, 0x3f65296c, v72
	v_fmac_f32_e32 v72, 0xbf65296c, v0
	s_delay_alu instid0(VALU_DEP_4) | instskip(SKIP_3) | instid1(VALU_DEP_1)
	v_add_f32_e32 v60, v62, v60
	v_fmamk_f32 v62, v40, 0x3e3c28d5, v65
	v_add_f32_e32 v61, v64, v61
	v_fmac_f32_e32 v65, 0xbe3c28d5, v40
	v_dual_add_f32 v60, v62, v60 :: v_dual_add_f32 v61, v65, v61
	v_mul_f32_e32 v70, 0xbe8c1d8e, v42
	v_mul_f32_e32 v65, 0x3f6eb680, v53
	s_delay_alu instid0(VALU_DEP_2) | instskip(SKIP_1) | instid1(VALU_DEP_2)
	v_fmamk_f32 v62, v36, 0x3f763a35, v70
	v_fmac_f32_e32 v70, 0xbf763a35, v36
	v_add_f32_e32 v62, v25, v62
	s_delay_alu instid0(VALU_DEP_1) | instskip(NEXT) | instid1(VALU_DEP_1)
	v_dual_add_f32 v62, v62, v69 :: v_dual_fmamk_f32 v69, v35, 0xbf2c7751, v71
	v_dual_fmac_f32 v71, 0x3f2c7751, v35 :: v_dual_add_f32 v62, v62, v69
	s_delay_alu instid0(VALU_DEP_4) | instskip(NEXT) | instid1(VALU_DEP_1)
	v_dual_add_f32 v69, v25, v70 :: v_dual_mul_f32 v70, 0xbf7ba420, v45
	v_add_f32_e32 v63, v69, v63
	s_delay_alu instid0(VALU_DEP_3) | instskip(NEXT) | instid1(VALU_DEP_2)
	v_dual_fmamk_f32 v69, v40, 0x3eb8f4ab, v65 :: v_dual_add_f32 v62, v62, v66
	v_add_f32_e32 v63, v63, v71
	v_fmac_f32_e32 v68, 0xbf763a35, v55
	v_mul_f32_e32 v71, 0xbe8c1d8e, v43
	s_delay_alu instid0(VALU_DEP_2) | instskip(SKIP_2) | instid1(VALU_DEP_2)
	v_dual_add_f32 v63, v63, v72 :: v_dual_add_f32 v58, v68, v58
	v_mul_f32_e32 v68, 0x3ee437d1, v54
	v_mul_f32_e32 v72, 0xbf1a4643, v54
	v_fmamk_f32 v67, v55, 0xbf65296c, v68
	s_delay_alu instid0(VALU_DEP_2) | instskip(SKIP_2) | instid1(VALU_DEP_4)
	v_fmamk_f32 v73, v55, 0x3f4c4adb, v72
	v_fmac_f32_e32 v72, 0xbf4c4adb, v55
	v_mul_f32_e32 v66, 0x3dbcf732, v46
	v_add_f32_e32 v60, v67, v60
	v_mul_f32_e32 v67, 0xbf7ba420, v44
	s_delay_alu instid0(VALU_DEP_1) | instskip(NEXT) | instid1(VALU_DEP_1)
	v_fmamk_f32 v64, v33, 0x3e3c28d5, v67
	v_dual_fmac_f32 v67, 0xbe3c28d5, v33 :: v_dual_add_f32 v62, v64, v62
	v_fmamk_f32 v64, v39, 0xbf7ee86f, v66
	s_delay_alu instid0(VALU_DEP_2) | instskip(SKIP_1) | instid1(VALU_DEP_3)
	v_add_f32_e32 v63, v67, v63
	v_fmac_f32_e32 v66, 0x3f7ee86f, v39
	v_add_f32_e32 v62, v64, v62
	s_delay_alu instid0(VALU_DEP_2) | instskip(SKIP_1) | instid1(VALU_DEP_3)
	v_dual_mul_f32 v64, 0x3dbcf732, v42 :: v_dual_add_f32 v63, v66, v63
	v_fmac_f32_e32 v68, 0x3f65296c, v55
	v_dual_add_f32 v62, v69, v62 :: v_dual_fmamk_f32 v69, v34, 0x3e3c28d5, v70
	s_delay_alu instid0(VALU_DEP_2) | instskip(NEXT) | instid1(VALU_DEP_4)
	v_dual_fmac_f32 v70, 0xbe3c28d5, v34 :: v_dual_add_f32 v61, v68, v61
	v_fmamk_f32 v68, v36, 0x3f7ee86f, v64
	v_fmac_f32_e32 v64, 0xbf7ee86f, v36
	s_delay_alu instid0(VALU_DEP_2) | instskip(NEXT) | instid1(VALU_DEP_2)
	v_add_f32_e32 v68, v25, v68
	v_add_f32_e32 v64, v25, v64
	v_dual_fmac_f32 v65, 0xbeb8f4ab, v40 :: v_dual_add_f32 v62, v73, v62
	v_mul_f32_e32 v73, 0xbf1a4643, v53
	s_delay_alu instid0(VALU_DEP_4) | instskip(NEXT) | instid1(VALU_DEP_3)
	v_dual_add_f32 v67, v68, v69 :: v_dual_fmamk_f32 v68, v35, 0xbf763a35, v71
	v_add_f32_e32 v63, v65, v63
	v_dual_mul_f32 v69, 0x3f6eb680, v41 :: v_dual_add_f32 v64, v64, v70
	s_delay_alu instid0(VALU_DEP_3) | instskip(NEXT) | instid1(VALU_DEP_3)
	v_dual_fmac_f32 v71, 0x3f763a35, v35 :: v_dual_add_f32 v66, v67, v68
	v_dual_add_f32 v63, v72, v63 :: v_dual_mul_f32 v72, 0x3ee437d1, v42
	v_mul_f32_e32 v68, 0x3ee437d1, v44
	s_delay_alu instid0(VALU_DEP_3) | instskip(SKIP_1) | instid1(VALU_DEP_4)
	v_add_f32_e32 v64, v64, v71
	v_mul_f32_e32 v70, 0x3f3d2fb0, v54
	v_fmamk_f32 v71, v36, 0x3f65296c, v72
	v_fmamk_f32 v67, v0, 0xbeb8f4ab, v69
	v_fmac_f32_e32 v69, 0x3eb8f4ab, v0
	s_delay_alu instid0(VALU_DEP_2) | instskip(SKIP_1) | instid1(VALU_DEP_3)
	v_dual_fmac_f32 v72, 0xbf65296c, v36 :: v_dual_add_f32 v65, v66, v67
	v_fmamk_f32 v66, v33, 0x3f65296c, v68
	v_dual_mul_f32 v67, 0xbf59a7d5, v46 :: v_dual_add_f32 v64, v64, v69
	v_fmac_f32_e32 v68, 0xbf65296c, v33
	v_fmamk_f32 v69, v34, 0x3f4c4adb, v74
	s_delay_alu instid0(VALU_DEP_3) | instskip(SKIP_1) | instid1(VALU_DEP_2)
	v_dual_add_f32 v65, v66, v65 :: v_dual_fmamk_f32 v66, v39, 0x3f06c442, v67
	v_fmac_f32_e32 v74, 0xbf4c4adb, v34
	v_dual_add_f32 v64, v68, v64 :: v_dual_add_f32 v65, v66, v65
	v_fmamk_f32 v66, v40, 0xbf4c4adb, v73
	s_delay_alu instid0(VALU_DEP_1) | instskip(NEXT) | instid1(VALU_DEP_1)
	v_dual_add_f32 v65, v66, v65 :: v_dual_fmamk_f32 v66, v55, 0xbf2c7751, v70
	v_dual_fmac_f32 v70, 0x3f2c7751, v55 :: v_dual_add_f32 v65, v66, v65
	v_add_f32_e32 v66, v25, v71
	s_delay_alu instid0(VALU_DEP_1) | instskip(NEXT) | instid1(VALU_DEP_1)
	v_dual_mul_f32 v71, 0xbf7ba420, v43 :: v_dual_add_f32 v66, v66, v69
	v_fmamk_f32 v68, v35, 0xbe3c28d5, v71
	s_delay_alu instid0(VALU_DEP_1) | instskip(NEXT) | instid1(VALU_DEP_1)
	v_dual_fmac_f32 v67, 0xbf06c442, v39 :: v_dual_add_f32 v66, v66, v68
	v_dual_mul_f32 v69, 0xbe8c1d8e, v41 :: v_dual_add_f32 v64, v67, v64
	v_add_f32_e32 v67, v25, v72
	v_mul_f32_e32 v72, 0x3f3d2fb0, v44
	s_delay_alu instid0(VALU_DEP_3) | instskip(SKIP_1) | instid1(VALU_DEP_4)
	v_fmamk_f32 v68, v0, 0xbf763a35, v69
	v_fmac_f32_e32 v71, 0x3e3c28d5, v35
	v_add_f32_e32 v67, v67, v74
	v_fmac_f32_e32 v69, 0x3f763a35, v0
	v_mul_f32_e32 v74, 0x3f6eb680, v46
	s_delay_alu instid0(VALU_DEP_3) | instskip(SKIP_1) | instid1(VALU_DEP_2)
	v_dual_add_f32 v66, v66, v68 :: v_dual_add_f32 v67, v67, v71
	v_mul_f32_e32 v71, 0x3dbcf732, v53
	v_add_f32_e32 v67, v67, v69
	v_mul_f32_e32 v69, 0x3f3d2fb0, v42
	v_fmamk_f32 v68, v33, 0xbf2c7751, v72
	v_fmac_f32_e32 v73, 0x3f4c4adb, v40
	v_fmac_f32_e32 v72, 0x3f2c7751, v33
	v_mul_f32_e32 v42, 0x3f6eb680, v42
	s_delay_alu instid0(VALU_DEP_4) | instskip(NEXT) | instid1(VALU_DEP_4)
	v_add_f32_e32 v66, v68, v66
	v_add_f32_e32 v64, v73, v64
	s_delay_alu instid0(VALU_DEP_4) | instskip(SKIP_2) | instid1(VALU_DEP_4)
	v_dual_fmamk_f32 v68, v39, 0x3eb8f4ab, v74 :: v_dual_add_f32 v67, v72, v67
	v_mul_f32_e32 v72, 0xbf59a7d5, v54
	v_fmac_f32_e32 v74, 0xbeb8f4ab, v39
	v_add_f32_e32 v64, v70, v64
	s_delay_alu instid0(VALU_DEP_3) | instskip(SKIP_1) | instid1(VALU_DEP_4)
	v_dual_add_f32 v66, v68, v66 :: v_dual_fmamk_f32 v75, v55, 0x3f06c442, v72
	v_mul_f32_e32 v70, 0x3dbcf732, v45
	v_dual_fmamk_f32 v68, v40, 0x3f7ee86f, v71 :: v_dual_add_f32 v67, v74, v67
	v_fmac_f32_e32 v71, 0xbf7ee86f, v40
	v_mul_f32_e32 v74, 0xbf1a4643, v43
	s_delay_alu instid0(VALU_DEP_3) | instskip(NEXT) | instid1(VALU_DEP_3)
	v_dual_fmamk_f32 v73, v34, 0x3f7ee86f, v70 :: v_dual_add_f32 v66, v68, v66
	v_dual_fmamk_f32 v68, v36, 0x3f2c7751, v69 :: v_dual_add_f32 v67, v71, v67
	v_fmac_f32_e32 v69, 0xbf2c7751, v36
	v_fmac_f32_e32 v72, 0xbf06c442, v55
	s_delay_alu instid0(VALU_DEP_3) | instskip(NEXT) | instid1(VALU_DEP_3)
	v_dual_fmamk_f32 v71, v35, 0x3f4c4adb, v74 :: v_dual_add_f32 v68, v25, v68
	v_dual_fmac_f32 v74, 0xbf4c4adb, v35 :: v_dual_add_f32 v69, v25, v69
	s_delay_alu instid0(VALU_DEP_3) | instskip(NEXT) | instid1(VALU_DEP_3)
	v_dual_add_f32 v67, v72, v67 :: v_dual_mul_f32 v72, 0xbf59a7d5, v44
	v_add_f32_e32 v68, v68, v73
	v_mul_f32_e32 v73, 0xbf7ba420, v41
	v_mul_f32_e32 v41, 0x3dbcf732, v41
	v_fmac_f32_e32 v70, 0xbf7ee86f, v34
	v_mul_f32_e32 v43, 0x3ee437d1, v43
	v_add_f32_e32 v68, v68, v71
	v_fmamk_f32 v71, v0, 0x3e3c28d5, v73
	v_fmac_f32_e32 v73, 0xbe3c28d5, v0
	v_add_f32_e32 v69, v69, v70
	v_add_f32_e32 v70, v25, v37
	s_delay_alu instid0(VALU_DEP_4) | instskip(SKIP_1) | instid1(VALU_DEP_4)
	v_dual_mul_f32 v45, 0x3f3d2fb0, v45 :: v_dual_add_f32 v68, v68, v71
	v_fmamk_f32 v71, v33, 0xbf06c442, v72
	v_dual_add_f32 v69, v69, v74 :: v_dual_mul_f32 v74, 0x3ee437d1, v53
	s_delay_alu instid0(VALU_DEP_4) | instskip(SKIP_1) | instid1(VALU_DEP_3)
	v_add_f32_e32 v70, v70, v29
	v_fmac_f32_e32 v72, 0x3f06c442, v33
	v_dual_mul_f32 v44, 0xbe8c1d8e, v44 :: v_dual_add_f32 v69, v69, v73
	v_dual_mul_f32 v73, 0x3f6eb680, v54 :: v_dual_add_f32 v68, v71, v68
	v_fmamk_f32 v71, v39, 0xbf763a35, v76
	s_delay_alu instid0(VALU_DEP_3) | instskip(SKIP_2) | instid1(VALU_DEP_4)
	v_dual_fmac_f32 v76, 0x3f763a35, v39 :: v_dual_add_f32 v69, v72, v69
	v_fmamk_f32 v72, v36, 0x3eb8f4ab, v42
	v_fmac_f32_e32 v42, 0xbeb8f4ab, v36
	v_dual_add_f32 v68, v71, v68 :: v_dual_fmamk_f32 v71, v40, 0xbf65296c, v74
	v_add_f32_e32 v70, v70, v21
	v_fmamk_f32 v36, v34, 0x3f2c7751, v45
	s_delay_alu instid0(VALU_DEP_4) | instskip(SKIP_1) | instid1(VALU_DEP_4)
	v_add_f32_e32 v42, v25, v42
	v_fmac_f32_e32 v45, 0xbf2c7751, v34
	v_dual_add_f32 v25, v25, v72 :: v_dual_add_f32 v70, v70, v23
	v_fmamk_f32 v34, v35, 0x3f65296c, v43
	s_delay_alu instid0(VALU_DEP_3) | instskip(NEXT) | instid1(VALU_DEP_3)
	v_dual_fmac_f32 v43, 0xbf65296c, v35 :: v_dual_add_f32 v42, v42, v45
	v_dual_add_f32 v25, v25, v36 :: v_dual_add_f32 v70, v70, v17
	v_dual_add_f32 v69, v76, v69 :: v_dual_fmac_f32 v74, 0x3f65296c, v40
	s_delay_alu instid0(VALU_DEP_3) | instskip(SKIP_1) | instid1(VALU_DEP_4)
	v_add_f32_e32 v42, v42, v43
	v_fmamk_f32 v36, v0, 0x3f7ee86f, v41
	v_dual_add_f32 v70, v70, v13 :: v_dual_fmac_f32 v41, 0xbf7ee86f, v0
	v_add_f32_e32 v25, v25, v34
	v_fmamk_f32 v34, v33, 0x3f763a35, v44
	v_fmac_f32_e32 v44, 0xbf763a35, v33
	s_delay_alu instid0(VALU_DEP_4) | instskip(SKIP_2) | instid1(VALU_DEP_3)
	v_add_f32_e32 v70, v70, v7
	v_add_f32_e32 v41, v42, v41
	v_dual_add_f32 v25, v25, v36 :: v_dual_mul_f32 v36, 0xbf59a7d5, v53
	v_add_f32_e32 v70, v70, v9
	s_delay_alu instid0(VALU_DEP_3) | instskip(NEXT) | instid1(VALU_DEP_3)
	v_add_f32_e32 v41, v44, v41
	v_dual_add_f32 v25, v34, v25 :: v_dual_fmamk_f32 v34, v40, 0x3f06c442, v36
	s_delay_alu instid0(VALU_DEP_3) | instskip(SKIP_1) | instid1(VALU_DEP_2)
	v_dual_fmac_f32 v36, 0xbf06c442, v40 :: v_dual_add_f32 v35, v70, v11
	v_add_f32_e32 v40, v74, v69
	v_dual_add_f32 v0, v35, v15 :: v_dual_mul_f32 v35, 0xbf1a4643, v46
	s_delay_alu instid0(VALU_DEP_1) | instskip(SKIP_2) | instid1(VALU_DEP_3)
	v_dual_add_f32 v0, v0, v19 :: v_dual_fmamk_f32 v33, v39, 0x3f4c4adb, v35
	v_fmac_f32_e32 v35, 0xbf4c4adb, v39
	v_dual_mul_f32 v39, 0xbf7ba420, v54 :: v_dual_add_f32 v68, v71, v68
	v_dual_add_f32 v0, v0, v27 :: v_dual_add_f32 v25, v33, v25
	s_delay_alu instid0(VALU_DEP_3) | instskip(NEXT) | instid1(VALU_DEP_3)
	v_add_f32_e32 v35, v35, v41
	v_fmamk_f32 v33, v55, 0x3e3c28d5, v39
	v_fmac_f32_e32 v39, 0xbe3c28d5, v55
	s_delay_alu instid0(VALU_DEP_4) | instskip(NEXT) | instid1(VALU_DEP_4)
	v_dual_add_f32 v0, v0, v31 :: v_dual_fmamk_f32 v71, v55, 0xbeb8f4ab, v73
	v_add_f32_e32 v35, v36, v35
	v_mul_u32_u24_e32 v36, 0x44, v3
	s_delay_alu instid0(VALU_DEP_3) | instskip(NEXT) | instid1(VALU_DEP_3)
	v_dual_fmac_f32 v73, 0x3eb8f4ab, v55 :: v_dual_add_f32 v0, v47, v0
	v_dual_add_f32 v25, v34, v25 :: v_dual_add_f32 v34, v39, v35
	s_delay_alu instid0(VALU_DEP_3) | instskip(NEXT) | instid1(VALU_DEP_3)
	v_add3_u32 v35, 0, v36, v4
	v_add_f32_e32 v36, v73, v40
	s_delay_alu instid0(VALU_DEP_4) | instskip(SKIP_2) | instid1(VALU_DEP_3)
	v_add_f32_e32 v0, v51, v0
	v_add_f32_e32 v39, v75, v66
	v_dual_add_f32 v40, v71, v68 :: v_dual_add_f32 v25, v33, v25
	v_add_f32_e32 v0, v49, v0
	ds_store_2addr_b32 v35, v0, v34 offset1:1
	ds_store_2addr_b32 v35, v36, v67 offset0:2 offset1:3
	ds_store_2addr_b32 v35, v64, v63 offset0:4 offset1:5
	;; [unrolled: 1-line block ×7, first 2 shown]
	ds_store_b32 v35, v25 offset:64
.LBB0_12:
	s_wait_alu 0xfffe
	s_or_b32 exec_lo, exec_lo, s1
	v_lshlrev_b32_e32 v33, 2, v3
	global_wb scope:SCOPE_SE
	s_wait_loadcnt_dscnt 0x0
	s_barrier_signal -1
	s_barrier_wait -1
	global_inv scope:SCOPE_SE
	v_add_nc_u32_e32 v0, 0, v33
	v_add3_u32 v53, 0, v4, v33
	s_add_nc_u64 s[2:3], s[14:15], s[2:3]
	s_delay_alu instid0(VALU_DEP_2) | instskip(NEXT) | instid1(VALU_DEP_1)
	v_add_nc_u32_e32 v25, v0, v4
	v_add_nc_u32_e32 v55, 0x200, v25
	;; [unrolled: 1-line block ×3, first 2 shown]
	ds_load_2addr_b32 v[39:40], v25 offset0:34 offset1:68
	ds_load_2addr_b32 v[35:36], v25 offset0:102 offset1:136
	;; [unrolled: 1-line block ×6, first 2 shown]
	ds_load_b32 v57, v53
	ds_load_b32 v56, v25 offset:1768
	global_wb scope:SCOPE_SE
	s_wait_dscnt 0x0
	s_barrier_signal -1
	s_barrier_wait -1
	global_inv scope:SCOPE_SE
	s_and_saveexec_b32 s1, s0
	s_cbranch_execz .LBB0_14
; %bb.13:
	v_dual_add_f32 v58, v26, v38 :: v_dual_sub_f32 v37, v37, v49
	v_add_f32_e32 v49, v30, v52
	v_dual_add_f32 v38, v38, v50 :: v_dual_sub_f32 v29, v29, v51
	s_delay_alu instid0(VALU_DEP_3) | instskip(SKIP_2) | instid1(VALU_DEP_3)
	v_dual_add_f32 v30, v58, v30 :: v_dual_mul_f32 v51, 0xbeb8f4ab, v37
	v_mul_f32_e32 v59, 0xbf65296c, v37
	v_dual_mul_f32 v58, 0xbf2c7751, v37 :: v_dual_sub_f32 v13, v13, v19
	v_dual_add_f32 v30, v30, v22 :: v_dual_mul_f32 v61, 0xbf763a35, v37
	s_delay_alu instid0(VALU_DEP_4) | instskip(SKIP_2) | instid1(VALU_DEP_4)
	v_fma_f32 v69, 0x3f6eb680, v38, -v51
	v_fmac_f32_e32 v51, 0x3f6eb680, v38
	v_mul_f32_e32 v60, 0xbf7ee86f, v37
	v_dual_add_f32 v30, v30, v24 :: v_dual_mul_f32 v63, 0xbf06c442, v37
	v_fma_f32 v71, 0x3ee437d1, v38, -v59
	v_mul_f32_e32 v62, 0xbf4c4adb, v37
	v_fma_f32 v73, 0xbe8c1d8e, v38, -v61
	s_delay_alu instid0(VALU_DEP_4) | instskip(SKIP_3) | instid1(VALU_DEP_4)
	v_dual_add_f32 v30, v30, v18 :: v_dual_mul_f32 v37, 0xbe3c28d5, v37
	v_fma_f32 v75, 0xbf59a7d5, v38, -v63
	v_fma_f32 v70, 0x3f3d2fb0, v38, -v58
	v_dual_fmac_f32 v58, 0x3f3d2fb0, v38 :: v_dual_add_f32 v69, v26, v69
	v_dual_add_f32 v30, v30, v14 :: v_dual_mul_f32 v65, 0xbf7ee86f, v29
	v_fma_f32 v76, 0xbf7ba420, v38, -v37
	v_add_f32_e32 v71, v26, v71
	v_fma_f32 v74, 0xbf1a4643, v38, -v62
	s_delay_alu instid0(VALU_DEP_4) | instskip(SKIP_2) | instid1(VALU_DEP_3)
	v_dual_add_f32 v30, v30, v8 :: v_dual_mul_f32 v67, 0xbe3c28d5, v29
	v_dual_fmac_f32 v62, 0xbf1a4643, v38 :: v_dual_add_f32 v73, v26, v73
	v_dual_mul_f32 v66, 0xbf4c4adb, v29 :: v_dual_add_f32 v75, v26, v75
	v_add_f32_e32 v30, v30, v10
	v_fma_f32 v77, 0x3dbcf732, v49, -v65
	v_dual_add_f32 v70, v26, v70 :: v_dual_fmac_f32 v65, 0x3dbcf732, v49
	v_add_f32_e32 v58, v26, v58
	s_delay_alu instid0(VALU_DEP_4) | instskip(SKIP_3) | instid1(VALU_DEP_4)
	v_dual_add_f32 v30, v30, v12 :: v_dual_fmac_f32 v59, 0x3ee437d1, v38
	v_add_f32_e32 v51, v26, v51
	v_fma_f32 v72, 0x3dbcf732, v38, -v60
	v_fmac_f32_e32 v60, 0x3dbcf732, v38
	v_dual_add_f32 v30, v30, v16 :: v_dual_fmac_f32 v61, 0xbe8c1d8e, v38
	v_dual_mul_f32 v64, 0xbf2c7751, v29 :: v_dual_add_f32 v59, v26, v59
	s_delay_alu instid0(VALU_DEP_4) | instskip(NEXT) | instid1(VALU_DEP_3)
	v_dual_fmac_f32 v37, 0xbf7ba420, v38 :: v_dual_add_f32 v72, v26, v72
	v_dual_add_f32 v30, v30, v20 :: v_dual_fmac_f32 v63, 0xbf59a7d5, v38
	s_delay_alu instid0(VALU_DEP_3) | instskip(SKIP_2) | instid1(VALU_DEP_4)
	v_fma_f32 v38, 0x3f3d2fb0, v49, -v64
	v_add_f32_e32 v60, v26, v60
	v_dual_add_f32 v74, v26, v74 :: v_dual_sub_f32 v21, v21, v47
	v_add_f32_e32 v30, v30, v28
	v_dual_mul_f32 v68, 0x3f06c442, v29 :: v_dual_add_f32 v63, v26, v63
	v_add_f32_e32 v62, v26, v62
	v_add_f32_e32 v76, v26, v76
	s_delay_alu instid0(VALU_DEP_4) | instskip(SKIP_3) | instid1(VALU_DEP_4)
	v_add_f32_e32 v30, v30, v32
	v_add_f32_e32 v61, v26, v61
	v_dual_add_f32 v37, v26, v37 :: v_dual_add_f32 v38, v69, v38
	v_fma_f32 v78, 0xbf1a4643, v49, -v66
	v_add_f32_e32 v30, v48, v30
	v_add_f32_e32 v22, v22, v48
	v_dual_add_f32 v14, v14, v20 :: v_dual_sub_f32 v23, v23, v31
	v_add_f32_e32 v24, v24, v32
	s_delay_alu instid0(VALU_DEP_4) | instskip(SKIP_3) | instid1(VALU_DEP_4)
	v_dual_add_f32 v26, v52, v30 :: v_dual_sub_f32 v17, v17, v27
	v_add_f32_e32 v18, v18, v28
	v_mul_f32_e32 v20, 0xbf4c4adb, v13
	v_add_f32_e32 v8, v8, v16
	v_add_f32_e32 v26, v50, v26
	v_fma_f32 v50, 0xbf7ba420, v49, -v67
	v_fmac_f32_e32 v67, 0xbf7ba420, v49
	v_mul_f32_e32 v28, 0xbf763a35, v17
	v_dual_add_f32 v10, v10, v12 :: v_dual_sub_f32 v9, v9, v11
	s_delay_alu instid0(VALU_DEP_3) | instskip(NEXT) | instid1(VALU_DEP_2)
	v_dual_add_f32 v60, v60, v67 :: v_dual_mul_f32 v67, 0x3f65296c, v29
	v_mul_f32_e32 v12, 0xbe3c28d5, v9
	s_delay_alu instid0(VALU_DEP_2)
	v_fma_f32 v47, 0x3ee437d1, v49, -v67
	v_fmac_f32_e32 v67, 0x3ee437d1, v49
	v_add_f32_e32 v52, v58, v65
	v_fma_f32 v65, 0xbf59a7d5, v49, -v68
	v_fmac_f32_e32 v68, 0xbf59a7d5, v49
	v_dual_fmac_f32 v66, 0xbf1a4643, v49 :: v_dual_add_f32 v47, v75, v47
	s_delay_alu instid0(VALU_DEP_3) | instskip(NEXT) | instid1(VALU_DEP_3)
	v_add_f32_e32 v65, v73, v65
	v_dual_add_f32 v61, v61, v68 :: v_dual_fmac_f32 v64, 0x3f3d2fb0, v49
	s_delay_alu instid0(VALU_DEP_3) | instskip(SKIP_1) | instid1(VALU_DEP_3)
	v_dual_add_f32 v59, v59, v66 :: v_dual_mul_f32 v48, 0xbf65296c, v21
	v_mul_f32_e32 v68, 0x3f763a35, v21
	v_add_f32_e32 v30, v51, v64
	v_mul_f32_e32 v64, 0x3f763a35, v29
	v_mul_f32_e32 v29, 0x3eb8f4ab, v29
	v_add_f32_e32 v51, v70, v77
	s_delay_alu instid0(VALU_DEP_3) | instskip(SKIP_1) | instid1(VALU_DEP_1)
	v_fma_f32 v66, 0xbe8c1d8e, v49, -v64
	v_fmac_f32_e32 v64, 0xbe8c1d8e, v49
	v_add_f32_e32 v62, v62, v64
	v_fma_f32 v64, 0x3f6eb680, v49, -v29
	v_dual_fmac_f32 v29, 0x3f6eb680, v49 :: v_dual_add_f32 v58, v71, v78
	v_dual_add_f32 v50, v72, v50 :: v_dual_add_f32 v49, v63, v67
	s_delay_alu instid0(VALU_DEP_3) | instskip(NEXT) | instid1(VALU_DEP_3)
	v_add_f32_e32 v63, v76, v64
	v_add_f32_e32 v29, v37, v29
	v_fma_f32 v64, 0x3ee437d1, v22, -v48
	v_fmac_f32_e32 v48, 0x3ee437d1, v22
	v_mul_f32_e32 v37, 0x3e3c28d5, v21
	s_delay_alu instid0(VALU_DEP_3) | instskip(NEXT) | instid1(VALU_DEP_3)
	v_dual_mul_f32 v67, 0xbf4c4adb, v21 :: v_dual_add_f32 v38, v38, v64
	v_add_f32_e32 v30, v30, v48
	s_delay_alu instid0(VALU_DEP_3) | instskip(SKIP_1) | instid1(VALU_DEP_1)
	v_fma_f32 v48, 0xbf7ba420, v22, -v37
	v_fmac_f32_e32 v37, 0xbf7ba420, v22
	v_dual_add_f32 v66, v74, v66 :: v_dual_add_f32 v37, v59, v37
	v_mul_f32_e32 v59, 0xbeb8f4ab, v21
	v_fma_f32 v64, 0xbf1a4643, v22, -v67
	v_add_f32_e32 v48, v58, v48
	v_fma_f32 v58, 0xbe8c1d8e, v22, -v68
	v_fmac_f32_e32 v68, 0xbe8c1d8e, v22
	v_fmac_f32_e32 v67, 0xbf1a4643, v22
	v_dual_add_f32 v51, v51, v64 :: v_dual_mul_f32 v64, 0x3f2c7751, v21
	s_delay_alu instid0(VALU_DEP_4) | instskip(NEXT) | instid1(VALU_DEP_4)
	v_add_f32_e32 v50, v50, v58
	v_add_f32_e32 v60, v60, v68
	v_mul_f32_e32 v68, 0xbf7ee86f, v21
	v_dual_add_f32 v52, v52, v67 :: v_dual_mul_f32 v21, 0xbf06c442, v21
	v_fma_f32 v58, 0x3f3d2fb0, v22, -v64
	v_fma_f32 v67, 0x3f6eb680, v22, -v59
	v_fmac_f32_e32 v59, 0x3f6eb680, v22
	s_delay_alu instid0(VALU_DEP_3) | instskip(SKIP_1) | instid1(VALU_DEP_3)
	v_add_f32_e32 v58, v65, v58
	v_fma_f32 v65, 0x3dbcf732, v22, -v68
	v_dual_add_f32 v59, v62, v59 :: v_dual_fmac_f32 v68, 0x3dbcf732, v22
	s_delay_alu instid0(VALU_DEP_2) | instskip(SKIP_2) | instid1(VALU_DEP_4)
	v_dual_mul_f32 v32, 0xbf7ee86f, v23 :: v_dual_add_f32 v31, v47, v65
	v_fma_f32 v47, 0xbf59a7d5, v22, -v21
	v_fmac_f32_e32 v21, 0xbf59a7d5, v22
	v_dual_add_f32 v49, v49, v68 :: v_dual_fmac_f32 v64, 0x3f3d2fb0, v22
	s_delay_alu instid0(VALU_DEP_4) | instskip(NEXT) | instid1(VALU_DEP_4)
	v_fma_f32 v62, 0x3dbcf732, v24, -v32
	v_add_f32_e32 v22, v63, v47
	v_mul_f32_e32 v47, 0xbe3c28d5, v23
	v_dual_fmac_f32 v32, 0x3dbcf732, v24 :: v_dual_add_f32 v21, v29, v21
	s_delay_alu instid0(VALU_DEP_4) | instskip(NEXT) | instid1(VALU_DEP_3)
	v_dual_mul_f32 v29, 0x3f763a35, v23 :: v_dual_add_f32 v38, v38, v62
	v_fma_f32 v63, 0xbf7ba420, v24, -v47
	s_delay_alu instid0(VALU_DEP_3) | instskip(SKIP_1) | instid1(VALU_DEP_4)
	v_add_f32_e32 v30, v30, v32
	v_fmac_f32_e32 v47, 0xbf7ba420, v24
	v_fma_f32 v32, 0xbe8c1d8e, v24, -v29
	v_fmac_f32_e32 v29, 0xbe8c1d8e, v24
	v_add_f32_e32 v51, v51, v63
	s_delay_alu instid0(VALU_DEP_4) | instskip(SKIP_4) | instid1(VALU_DEP_2)
	v_add_f32_e32 v47, v52, v47
	v_dual_add_f32 v61, v61, v64 :: v_dual_add_f32 v64, v66, v67
	v_add_f32_e32 v32, v48, v32
	v_dual_mul_f32 v48, 0xbf65296c, v23 :: v_dual_add_f32 v29, v37, v29
	v_mul_f32_e32 v37, 0xbf06c442, v23
	v_fma_f32 v63, 0x3ee437d1, v24, -v48
	v_fmac_f32_e32 v48, 0x3ee437d1, v24
	s_delay_alu instid0(VALU_DEP_1) | instskip(NEXT) | instid1(VALU_DEP_1)
	v_dual_add_f32 v48, v61, v48 :: v_dual_mul_f32 v61, 0x3f4c4adb, v23
	v_fma_f32 v27, 0xbf1a4643, v24, -v61
	v_fmac_f32_e32 v61, 0xbf1a4643, v24
	s_delay_alu instid0(VALU_DEP_2) | instskip(SKIP_3) | instid1(VALU_DEP_3)
	v_add_f32_e32 v27, v31, v27
	v_fma_f32 v31, 0xbe8c1d8e, v18, -v28
	v_mul_f32_e32 v62, 0x3eb8f4ab, v23
	v_mul_f32_e32 v23, 0x3f2c7751, v23
	v_dual_add_f32 v58, v58, v63 :: v_dual_add_f32 v31, v31, v38
	s_delay_alu instid0(VALU_DEP_3) | instskip(SKIP_1) | instid1(VALU_DEP_2)
	v_fma_f32 v52, 0x3f6eb680, v24, -v62
	v_fmac_f32_e32 v62, 0x3f6eb680, v24
	v_add_f32_e32 v50, v50, v52
	s_delay_alu instid0(VALU_DEP_2) | instskip(SKIP_2) | instid1(VALU_DEP_1)
	v_add_f32_e32 v52, v60, v62
	v_fma_f32 v60, 0xbf59a7d5, v24, -v37
	v_fmac_f32_e32 v37, 0xbf59a7d5, v24
	v_add_f32_e32 v37, v59, v37
	v_fma_f32 v59, 0x3f3d2fb0, v24, -v23
	s_delay_alu instid0(VALU_DEP_1) | instskip(SKIP_3) | instid1(VALU_DEP_4)
	v_dual_fmac_f32 v23, 0x3f3d2fb0, v24 :: v_dual_add_f32 v22, v22, v59
	v_mul_f32_e32 v59, 0xbf65296c, v17
	v_add_f32_e32 v24, v49, v61
	v_mul_f32_e32 v49, 0x3f06c442, v17
	v_add_f32_e32 v21, v21, v23
	v_mul_f32_e32 v23, 0x3f2c7751, v17
	s_delay_alu instid0(VALU_DEP_3) | instskip(SKIP_1) | instid1(VALU_DEP_1)
	v_fma_f32 v38, 0xbf59a7d5, v18, -v49
	v_fmac_f32_e32 v49, 0xbf59a7d5, v18
	v_add_f32_e32 v47, v49, v47
	v_dual_mul_f32 v49, 0xbe3c28d5, v17 :: v_dual_add_f32 v60, v64, v60
	v_fmac_f32_e32 v28, 0xbe8c1d8e, v18
	v_add_f32_e32 v38, v38, v51
	s_delay_alu instid0(VALU_DEP_2) | instskip(SKIP_1) | instid1(VALU_DEP_1)
	v_add_f32_e32 v28, v28, v30
	v_fma_f32 v30, 0x3f3d2fb0, v18, -v23
	v_dual_fmac_f32 v23, 0x3f3d2fb0, v18 :: v_dual_add_f32 v30, v30, v32
	v_fma_f32 v32, 0x3ee437d1, v18, -v59
	v_fmac_f32_e32 v59, 0x3ee437d1, v18
	s_delay_alu instid0(VALU_DEP_3) | instskip(NEXT) | instid1(VALU_DEP_3)
	v_add_f32_e32 v23, v23, v29
	v_dual_mul_f32 v29, 0x3f7ee86f, v17 :: v_dual_add_f32 v32, v32, v50
	v_fma_f32 v50, 0xbf7ba420, v18, -v49
	s_delay_alu instid0(VALU_DEP_4) | instskip(SKIP_1) | instid1(VALU_DEP_4)
	v_add_f32_e32 v51, v59, v52
	v_fmac_f32_e32 v49, 0xbf7ba420, v18
	v_fma_f32 v52, 0x3dbcf732, v18, -v29
	v_mul_f32_e32 v59, 0xbeb8f4ab, v17
	v_mul_f32_e32 v17, 0xbf4c4adb, v17
	s_delay_alu instid0(VALU_DEP_4) | instskip(NEXT) | instid1(VALU_DEP_4)
	v_dual_fmac_f32 v29, 0x3dbcf732, v18 :: v_dual_add_f32 v48, v49, v48
	v_add_f32_e32 v49, v52, v60
	s_delay_alu instid0(VALU_DEP_4) | instskip(SKIP_1) | instid1(VALU_DEP_4)
	v_fma_f32 v52, 0x3f6eb680, v18, -v59
	v_fmac_f32_e32 v59, 0x3f6eb680, v18
	v_dual_add_f32 v50, v50, v58 :: v_dual_add_f32 v29, v29, v37
	s_delay_alu instid0(VALU_DEP_3) | instskip(SKIP_2) | instid1(VALU_DEP_2)
	v_add_f32_e32 v19, v52, v27
	v_fma_f32 v27, 0xbf1a4643, v18, -v17
	v_fmac_f32_e32 v17, 0xbf1a4643, v18
	v_add_f32_e32 v18, v27, v22
	v_fma_f32 v27, 0xbf1a4643, v14, -v20
	v_mul_f32_e32 v22, 0x3f763a35, v13
	s_delay_alu instid0(VALU_DEP_2) | instskip(NEXT) | instid1(VALU_DEP_2)
	v_dual_fmac_f32 v20, 0xbf1a4643, v14 :: v_dual_add_f32 v27, v27, v31
	v_fma_f32 v37, 0xbe8c1d8e, v14, -v22
	s_delay_alu instid0(VALU_DEP_1) | instskip(SKIP_1) | instid1(VALU_DEP_1)
	v_dual_add_f32 v20, v20, v28 :: v_dual_add_f32 v31, v37, v38
	v_mul_f32_e32 v37, 0xbf06c442, v13
	v_fma_f32 v38, 0xbf59a7d5, v14, -v37
	v_fmac_f32_e32 v37, 0xbf59a7d5, v14
	v_fmac_f32_e32 v22, 0xbe8c1d8e, v14
	s_delay_alu instid0(VALU_DEP_2) | instskip(NEXT) | instid1(VALU_DEP_2)
	v_dual_add_f32 v32, v38, v32 :: v_dual_add_f32 v37, v37, v51
	v_add_f32_e32 v22, v22, v47
	v_dual_add_f32 v24, v59, v24 :: v_dual_add_f32 v17, v17, v21
	v_mul_f32_e32 v21, 0xbeb8f4ab, v13
	s_delay_alu instid0(VALU_DEP_1) | instskip(SKIP_1) | instid1(VALU_DEP_1)
	v_fma_f32 v28, 0x3f6eb680, v14, -v21
	v_fmac_f32_e32 v21, 0x3f6eb680, v14
	v_dual_add_f32 v28, v28, v30 :: v_dual_add_f32 v21, v21, v23
	v_mul_f32_e32 v23, 0xbf2c7751, v13
	v_mul_f32_e32 v30, 0x3f7ee86f, v13
	s_delay_alu instid0(VALU_DEP_2) | instskip(NEXT) | instid1(VALU_DEP_2)
	v_fma_f32 v38, 0x3f3d2fb0, v14, -v23
	v_fma_f32 v47, 0x3dbcf732, v14, -v30
	s_delay_alu instid0(VALU_DEP_2) | instskip(NEXT) | instid1(VALU_DEP_1)
	v_dual_fmac_f32 v23, 0x3f3d2fb0, v14 :: v_dual_add_f32 v38, v38, v49
	v_dual_fmac_f32 v30, 0x3dbcf732, v14 :: v_dual_add_f32 v23, v23, v29
	s_delay_alu instid0(VALU_DEP_1) | instskip(SKIP_1) | instid1(VALU_DEP_1)
	v_dual_add_f32 v47, v47, v50 :: v_dual_add_f32 v30, v30, v48
	v_dual_mul_f32 v48, 0xbe3c28d5, v13 :: v_dual_sub_f32 v7, v7, v15
	v_fma_f32 v15, 0xbf7ba420, v14, -v48
	v_fmac_f32_e32 v48, 0xbf7ba420, v14
	v_mul_f32_e32 v13, 0x3f65296c, v13
	s_delay_alu instid0(VALU_DEP_1) | instskip(SKIP_3) | instid1(VALU_DEP_4)
	v_fma_f32 v29, 0x3ee437d1, v14, -v13
	v_fmac_f32_e32 v13, 0x3ee437d1, v14
	v_mul_f32_e32 v16, 0xbf06c442, v7
	v_dual_add_f32 v15, v15, v19 :: v_dual_add_f32 v14, v48, v24
	v_add_f32_e32 v18, v29, v18
	s_delay_alu instid0(VALU_DEP_4) | instskip(NEXT) | instid1(VALU_DEP_4)
	v_add_f32_e32 v13, v13, v17
	v_fma_f32 v19, 0xbf59a7d5, v8, -v16
	s_delay_alu instid0(VALU_DEP_1) | instskip(NEXT) | instid1(VALU_DEP_1)
	v_dual_fmac_f32 v16, 0xbf59a7d5, v8 :: v_dual_add_f32 v19, v19, v27
	v_dual_mul_f32 v17, 0xbf7ee86f, v7 :: v_dual_add_f32 v16, v16, v20
	s_delay_alu instid0(VALU_DEP_1) | instskip(SKIP_2) | instid1(VALU_DEP_2)
	v_fma_f32 v20, 0x3dbcf732, v8, -v17
	v_fmac_f32_e32 v17, 0x3dbcf732, v8
	v_mul_f32_e32 v24, 0x3f65296c, v7
	v_dual_add_f32 v20, v20, v28 :: v_dual_add_f32 v17, v17, v21
	s_delay_alu instid0(VALU_DEP_2) | instskip(SKIP_2) | instid1(VALU_DEP_2)
	v_fma_f32 v27, 0x3ee437d1, v8, -v24
	v_fmac_f32_e32 v24, 0x3ee437d1, v8
	v_mul_f32_e32 v29, 0x3f4c4adb, v7
	v_dual_add_f32 v27, v27, v31 :: v_dual_add_f32 v22, v24, v22
	s_delay_alu instid0(VALU_DEP_2) | instskip(NEXT) | instid1(VALU_DEP_1)
	v_fma_f32 v24, 0xbf1a4643, v8, -v29
	v_dual_mul_f32 v21, 0xbe3c28d5, v7 :: v_dual_add_f32 v24, v24, v32
	s_delay_alu instid0(VALU_DEP_1) | instskip(SKIP_1) | instid1(VALU_DEP_1)
	v_fma_f32 v32, 0xbf7ba420, v8, -v21
	v_fmac_f32_e32 v29, 0xbf1a4643, v8
	v_dual_mul_f32 v28, 0xbeb8f4ab, v7 :: v_dual_add_f32 v29, v29, v37
	s_delay_alu instid0(VALU_DEP_1) | instskip(SKIP_3) | instid1(VALU_DEP_3)
	v_fma_f32 v31, 0x3f6eb680, v8, -v28
	v_fmac_f32_e32 v28, 0x3f6eb680, v8
	v_mul_f32_e32 v37, 0x3f2c7751, v7
	v_mul_f32_e32 v7, 0xbf763a35, v7
	v_dual_add_f32 v31, v31, v47 :: v_dual_add_f32 v28, v28, v30
	v_add_f32_e32 v30, v32, v38
	s_delay_alu instid0(VALU_DEP_4) | instskip(SKIP_2) | instid1(VALU_DEP_3)
	v_fma_f32 v32, 0x3f3d2fb0, v8, -v37
	v_fmac_f32_e32 v37, 0x3f3d2fb0, v8
	v_fmac_f32_e32 v21, 0xbf7ba420, v8
	v_add_f32_e32 v11, v32, v15
	v_fma_f32 v15, 0xbe8c1d8e, v8, -v7
	s_delay_alu instid0(VALU_DEP_4) | instskip(NEXT) | instid1(VALU_DEP_4)
	v_add_f32_e32 v14, v37, v14
	v_add_f32_e32 v21, v21, v23
	s_delay_alu instid0(VALU_DEP_3) | instskip(SKIP_3) | instid1(VALU_DEP_3)
	v_dual_fmac_f32 v7, 0xbe8c1d8e, v8 :: v_dual_add_f32 v8, v15, v18
	v_fma_f32 v18, 0xbf7ba420, v10, -v12
	v_fmac_f32_e32 v12, 0xbf7ba420, v10
	v_mul_f32_e32 v15, 0x3eb8f4ab, v9
	v_dual_add_f32 v7, v7, v13 :: v_dual_add_f32 v18, v18, v19
	s_delay_alu instid0(VALU_DEP_3) | instskip(NEXT) | instid1(VALU_DEP_3)
	v_add_f32_e32 v12, v12, v16
	v_fma_f32 v23, 0x3f6eb680, v10, -v15
	v_fmac_f32_e32 v15, 0x3f6eb680, v10
	s_delay_alu instid0(VALU_DEP_2) | instskip(SKIP_1) | instid1(VALU_DEP_3)
	v_add_f32_e32 v19, v23, v27
	v_mul_f32_e32 v23, 0x3f2c7751, v9
	v_add_f32_e32 v15, v15, v22
	s_delay_alu instid0(VALU_DEP_2) | instskip(SKIP_1) | instid1(VALU_DEP_2)
	v_fma_f32 v22, 0x3f3d2fb0, v10, -v23
	v_mul_f32_e32 v13, 0xbf06c442, v9
	v_dual_fmac_f32 v23, 0x3f3d2fb0, v10 :: v_dual_add_f32 v22, v22, v24
	s_delay_alu instid0(VALU_DEP_2) | instskip(SKIP_1) | instid1(VALU_DEP_2)
	v_fma_f32 v16, 0xbf59a7d5, v10, -v13
	v_fmac_f32_e32 v13, 0xbf59a7d5, v10
	v_dual_add_f32 v23, v23, v29 :: v_dual_add_f32 v16, v16, v20
	v_mul_f32_e32 v20, 0xbf4c4adb, v9
	s_delay_alu instid0(VALU_DEP_1) | instskip(NEXT) | instid1(VALU_DEP_1)
	v_fma_f32 v27, 0xbf1a4643, v10, -v20
	v_dual_fmac_f32 v20, 0xbf1a4643, v10 :: v_dual_add_f32 v27, v27, v31
	s_delay_alu instid0(VALU_DEP_1) | instskip(SKIP_4) | instid1(VALU_DEP_4)
	v_add_f32_e32 v20, v20, v28
	v_mul_f32_e32 v28, 0xbf763a35, v9
	v_add_f32_e32 v13, v13, v17
	v_mul_f32_e32 v17, 0x3f65296c, v9
	v_mul_f32_e32 v9, 0x3f7ee86f, v9
	v_fma_f32 v29, 0xbe8c1d8e, v10, -v28
	v_fmac_f32_e32 v28, 0xbe8c1d8e, v10
	s_delay_alu instid0(VALU_DEP_4) | instskip(SKIP_1) | instid1(VALU_DEP_1)
	v_fma_f32 v24, 0x3ee437d1, v10, -v17
	v_fmac_f32_e32 v17, 0x3ee437d1, v10
	v_dual_add_f32 v24, v24, v30 :: v_dual_add_f32 v17, v17, v21
	v_lshlrev_b32_e32 v21, 6, v3
	v_fma_f32 v30, 0x3dbcf732, v10, -v9
	v_dual_fmac_f32 v9, 0x3dbcf732, v10 :: v_dual_add_f32 v10, v29, v11
	v_add_f32_e32 v11, v28, v14
	s_delay_alu instid0(VALU_DEP_4) | instskip(NEXT) | instid1(VALU_DEP_3)
	v_add3_u32 v0, v0, v21, v4
	v_dual_add_f32 v8, v30, v8 :: v_dual_add_f32 v7, v9, v7
	ds_store_2addr_b32 v0, v26, v18 offset1:1
	ds_store_2addr_b32 v0, v19, v16 offset0:2 offset1:3
	ds_store_2addr_b32 v0, v22, v27 offset0:4 offset1:5
	;; [unrolled: 1-line block ×7, first 2 shown]
	ds_store_b32 v0, v12 offset:64
.LBB0_14:
	s_wait_alu 0xfffe
	s_or_b32 exec_lo, exec_lo, s1
	v_add_nc_u32_e32 v26, 34, v3
	v_add_nc_u32_e32 v8, 0x44, v3
	v_dual_mov_b32 v12, 0 :: v_dual_add_nc_u32 v7, 0x66, v3
	v_subrev_nc_u32_e32 v13, 17, v3
	s_delay_alu instid0(VALU_DEP_4) | instskip(SKIP_1) | instid1(VALU_DEP_4)
	v_and_b32_e32 v11, 0xff, v26
	v_cmp_gt_u32_e64 s0, 17, v3
	v_and_b32_e32 v14, 0xff, v7
	v_add_nc_u32_e32 v0, 0x88, v3
	v_add_nc_u32_e32 v10, 0xaa, v3
	v_mul_lo_u16 v11, 0xf1, v11
	s_load_b64 s[2:3], s[2:3], 0x0
	v_mul_lo_u16 v19, 0xf1, v14
	v_and_b32_e32 v16, 0xff, v0
	global_wb scope:SCOPE_SE
	s_wait_dscnt 0x0
	v_lshrrev_b16 v58, 12, v11
	v_cndmask_b32_e64 v11, v13, v3, s0
	v_and_b32_e32 v13, 0xff, v8
	s_wait_kmcnt 0x0
	s_barrier_signal -1
	s_barrier_wait -1
	global_inv scope:SCOPE_SE
	v_mul_lo_u16 v15, v58, 17
	v_mul_lo_u16 v18, 0xf1, v13
	v_lshlrev_b64_e32 v[13:14], 3, v[11:12]
	v_and_b32_e32 v17, 0xff, v10
	v_mul_lo_u16 v16, 0xf1, v16
	v_sub_nc_u16 v15, v26, v15
	v_lshrrev_b16 v59, 12, v18
	v_lshrrev_b16 v60, 12, v19
	v_add_co_u32 v13, s0, s8, v13
	s_wait_alu 0xf1ff
	v_add_co_ci_u32_e64 v14, s0, s9, v14, s0
	v_mul_lo_u16 v17, 0xf1, v17
	v_mul_lo_u16 v18, v59, 17
	v_lshrrev_b16 v62, 12, v16
	global_load_b64 v[13:14], v[13:14], off
	v_add_nc_u32_e32 v9, 0xcc, v3
	v_and_b32_e32 v61, 0xff, v15
	v_lshrrev_b16 v63, 12, v17
	v_sub_nc_u16 v16, v8, v18
	v_mul_lo_u16 v17, v62, 17
	v_and_b32_e32 v20, 0xff, v9
	v_lshlrev_b32_e32 v15, 3, v61
	v_cmp_lt_u32_e64 s0, 16, v3
	v_and_b32_e32 v65, 0xff, v16
	v_sub_nc_u16 v16, v0, v17
	v_mul_lo_u16 v19, 0xf1, v20
	v_mul_lo_u16 v20, v60, 17
	s_wait_alu 0xf1ff
	v_cndmask_b32_e64 v51, 0, 0x88, s0
	v_lshlrev_b32_e32 v11, 2, v11
	v_and_b32_e32 v67, 0xff, v16
	v_lshrrev_b16 v64, 12, v19
	v_sub_nc_u16 v18, v7, v20
	v_mul_lo_u16 v19, v63, 17
	global_load_b64 v[15:16], v15, s[8:9]
	v_lshlrev_b32_e32 v21, 3, v67
	v_mul_lo_u16 v20, v64, 17
	v_and_b32_e32 v66, 0xff, v18
	v_sub_nc_u16 v17, v10, v19
	v_lshlrev_b32_e32 v19, 3, v65
	v_lshlrev_b32_e32 v65, 2, v65
	v_sub_nc_u16 v18, v9, v20
	v_lshlrev_b32_e32 v20, 3, v66
	v_and_b32_e32 v68, 0xff, v17
	v_lshlrev_b32_e32 v67, 2, v67
	v_and_b32_e32 v58, 0xffff, v58
	v_and_b32_e32 v69, 0xff, v18
	s_clause 0x1
	global_load_b64 v[17:18], v19, s[8:9]
	global_load_b64 v[19:20], v20, s[8:9]
	v_lshlrev_b32_e32 v23, 3, v68
	v_mad_u32_u24 v58, 0x88, v58, 0
	v_lshlrev_b32_e32 v27, 3, v69
	s_clause 0x2
	global_load_b64 v[21:22], v21, s[8:9]
	global_load_b64 v[23:24], v23, s[8:9]
	;; [unrolled: 1-line block ×3, first 2 shown]
	ds_load_2addr_b32 v[29:30], v55 offset0:110 offset1:144
	ds_load_2addr_b32 v[31:32], v25 offset0:34 offset1:68
	;; [unrolled: 1-line block ×5, first 2 shown]
	v_add_nc_u32_e32 v71, 0, v51
	v_and_b32_e32 v59, 0xffff, v59
	v_and_b32_e32 v62, 0xffff, v62
	ds_load_2addr_b32 v[51:52], v25 offset0:170 offset1:204
	ds_load_b32 v72, v53
	ds_load_b32 v73, v25 offset:1768
	v_lshlrev_b32_e32 v61, 2, v61
	v_add3_u32 v11, v71, v11, v4
	v_mad_u32_u24 v59, 0x88, v59, 0
	v_mad_u32_u24 v62, 0x88, v62, 0
	v_lshlrev_b32_e32 v66, 2, v66
	v_and_b32_e32 v63, 0xffff, v63
	v_mul_u32_u24_e32 v70, 6, v3
	global_wb scope:SCOPE_SE
	s_wait_loadcnt_dscnt 0x0
	s_barrier_signal -1
	s_barrier_wait -1
	v_mad_u32_u24 v63, 0x88, v63, 0
	global_inv scope:SCOPE_SE
	v_mul_f32_e32 v71, v29, v14
	v_mul_f32_e32 v14, v45, v14
	s_delay_alu instid0(VALU_DEP_2) | instskip(SKIP_2) | instid1(VALU_DEP_4)
	v_fmac_f32_e32 v71, v45, v13
	v_add3_u32 v45, v59, v65, v4
	v_add3_u32 v59, v62, v67, v4
	v_fma_f32 v13, v29, v13, -v14
	v_add3_u32 v14, v58, v61, v4
	v_sub_f32_e32 v29, v57, v71
	s_delay_alu instid0(VALU_DEP_3) | instskip(NEXT) | instid1(VALU_DEP_2)
	v_sub_f32_e32 v13, v72, v13
	v_fma_f32 v57, v57, 2.0, -v29
	s_delay_alu instid0(VALU_DEP_2)
	v_fma_f32 v61, v72, 2.0, -v13
	v_mul_f32_e32 v62, v30, v16
	v_mul_f32_e32 v16, v46, v16
	ds_store_2addr_b32 v11, v57, v29 offset1:17
	v_fmac_f32_e32 v62, v46, v15
	v_and_b32_e32 v60, 0xffff, v60
	v_fma_f32 v15, v30, v15, -v16
	v_lshlrev_b32_e32 v70, 3, v70
	s_delay_alu instid0(VALU_DEP_3) | instskip(NEXT) | instid1(VALU_DEP_3)
	v_mad_u32_u24 v60, 0x88, v60, 0
	v_sub_f32_e32 v15, v31, v15
	s_delay_alu instid0(VALU_DEP_2) | instskip(SKIP_4) | instid1(VALU_DEP_4)
	v_add3_u32 v58, v60, v66, v4
	v_dual_mul_f32 v65, v49, v22 :: v_dual_mul_f32 v66, v50, v24
	v_mul_f32_e32 v67, v73, v28
	v_dual_mul_f32 v24, v42, v24 :: v_dual_lshlrev_b32 v69, 2, v69
	v_mul_f32_e32 v22, v41, v22
	v_fmac_f32_e32 v66, v42, v23
	s_delay_alu instid0(VALU_DEP_4) | instskip(SKIP_2) | instid1(VALU_DEP_3)
	v_dual_fmac_f32 v67, v56, v27 :: v_dual_and_b32 v64, 0xffff, v64
	v_lshlrev_b32_e32 v68, 2, v68
	v_dual_mul_f32 v28, v56, v28 :: v_dual_fmac_f32 v65, v41, v21
	v_mad_u32_u24 v64, 0x88, v64, 0
	s_delay_alu instid0(VALU_DEP_3) | instskip(SKIP_2) | instid1(VALU_DEP_4)
	v_add3_u32 v60, v63, v68, v4
	v_mul_f32_e32 v63, v37, v18
	v_mul_f32_e32 v18, v43, v18
	v_add3_u32 v4, v64, v69, v4
	v_mul_f32_e32 v64, v38, v20
	s_delay_alu instid0(VALU_DEP_4) | instskip(NEXT) | instid1(VALU_DEP_4)
	v_dual_mul_f32 v20, v44, v20 :: v_dual_fmac_f32 v63, v43, v17
	v_fma_f32 v16, v37, v17, -v18
	v_fma_f32 v18, v49, v21, -v22
	s_delay_alu instid0(VALU_DEP_4) | instskip(NEXT) | instid1(VALU_DEP_4)
	v_fmac_f32_e32 v64, v44, v19
	v_fma_f32 v17, v38, v19, -v20
	v_fma_f32 v19, v50, v23, -v24
	;; [unrolled: 1-line block ×3, first 2 shown]
	v_dual_sub_f32 v21, v39, v62 :: v_dual_sub_f32 v22, v40, v63
	v_sub_f32_e32 v16, v32, v16
	v_sub_f32_e32 v23, v35, v64
	;; [unrolled: 1-line block ×5, first 2 shown]
	v_dual_sub_f32 v27, v33, v66 :: v_dual_sub_f32 v28, v34, v67
	v_dual_sub_f32 v19, v51, v19 :: v_dual_sub_f32 v20, v52, v20
	v_fma_f32 v29, v39, 2.0, -v21
	v_fma_f32 v39, v31, 2.0, -v15
	;; [unrolled: 1-line block ×12, first 2 shown]
	ds_store_2addr_b32 v14, v29, v21 offset1:17
	ds_store_2addr_b32 v45, v30, v22 offset1:17
	;; [unrolled: 1-line block ×6, first 2 shown]
	global_wb scope:SCOPE_SE
	s_wait_dscnt 0x0
	s_barrier_signal -1
	s_barrier_wait -1
	global_inv scope:SCOPE_SE
	ds_load_2addr_b32 v[27:28], v25 offset0:34 offset1:68
	ds_load_2addr_b32 v[29:30], v25 offset0:102 offset1:136
	ds_load_2addr_b32 v[31:32], v25 offset0:170 offset1:204
	ds_load_2addr_b32 v[33:34], v55 offset0:110 offset1:144
	ds_load_2addr_b32 v[35:36], v54 offset0:50 offset1:84
	ds_load_2addr_b32 v[37:38], v54 offset0:118 offset1:152
	ds_load_b32 v51, v53
	ds_load_b32 v52, v25 offset:1768
	global_wb scope:SCOPE_SE
	s_wait_dscnt 0x0
	s_barrier_signal -1
	s_barrier_wait -1
	global_inv scope:SCOPE_SE
	ds_store_2addr_b32 v11, v61, v13 offset1:17
	ds_store_2addr_b32 v14, v39, v15 offset1:17
	;; [unrolled: 1-line block ×7, first 2 shown]
	global_wb scope:SCOPE_SE
	s_wait_dscnt 0x0
	s_barrier_signal -1
	s_barrier_wait -1
	global_inv scope:SCOPE_SE
	s_clause 0x2
	global_load_b128 v[13:16], v70, s[8:9] offset:136
	global_load_b128 v[17:20], v70, s[8:9] offset:152
	;; [unrolled: 1-line block ×3, first 2 shown]
	ds_load_2addr_b32 v[39:40], v25 offset0:34 offset1:68
	ds_load_2addr_b32 v[41:42], v25 offset0:102 offset1:136
	;; [unrolled: 1-line block ×6, first 2 shown]
	ds_load_b32 v4, v53
	ds_load_b32 v11, v25 offset:1768
	global_wb scope:SCOPE_SE
	s_wait_loadcnt_dscnt 0x0
	s_barrier_signal -1
	s_barrier_wait -1
	global_inv scope:SCOPE_SE
	v_mul_f32_e32 v57, v28, v14
	v_dual_mul_f32 v59, v30, v16 :: v_dual_mul_f32 v60, v44, v18
	v_dual_mul_f32 v61, v32, v18 :: v_dual_mul_f32 v62, v46, v20
	;; [unrolled: 1-line block ×5, first 2 shown]
	v_mul_f32_e32 v56, v40, v14
	v_mul_f32_e32 v58, v42, v16
	v_dual_mul_f32 v63, v34, v20 :: v_dual_mul_f32 v64, v48, v22
	v_dual_mul_f32 v65, v36, v22 :: v_dual_mul_f32 v66, v50, v24
	v_dual_mul_f32 v14, v29, v14 :: v_dual_mul_f32 v69, v43, v16
	v_dual_mul_f32 v16, v31, v16 :: v_dual_fmac_f32 v73, v52, v23
	v_mul_f32_e32 v72, v49, v22
	v_dual_mul_f32 v22, v37, v22 :: v_dual_fmac_f32 v71, v35, v19
	v_fmac_f32_e32 v70, v33, v17
	v_fmac_f32_e32 v68, v29, v13
	;; [unrolled: 1-line block ×3, first 2 shown]
	v_dual_fmac_f32 v69, v31, v15 :: v_dual_fmac_f32 v72, v37, v21
	v_fmac_f32_e32 v60, v32, v17
	s_delay_alu instid0(VALU_DEP_4)
	v_add_f32_e32 v33, v68, v73
	v_fmac_f32_e32 v64, v36, v21
	v_fma_f32 v36, v48, v21, -v65
	v_fmac_f32_e32 v66, v38, v23
	v_fma_f32 v38, v50, v23, -v67
	;; [unrolled: 2-line block ×4, first 2 shown]
	v_mul_f32_e32 v20, v35, v20
	v_fma_f32 v13, v41, v13, -v14
	v_mul_f32_e32 v24, v52, v24
	v_fma_f32 v32, v44, v17, -v61
	v_fma_f32 v34, v46, v19, -v63
	;; [unrolled: 1-line block ×7, first 2 shown]
	v_add_f32_e32 v19, v28, v38
	v_add_f32_e32 v23, v30, v36
	v_dual_sub_f32 v21, v28, v38 :: v_dual_sub_f32 v28, v30, v36
	v_add_f32_e32 v36, v14, v17
	v_dual_add_f32 v38, v15, v16 :: v_dual_sub_f32 v15, v16, v15
	v_sub_f32_e32 v14, v14, v17
	v_dual_add_f32 v17, v70, v71 :: v_dual_add_f32 v30, v32, v34
	v_sub_f32_e32 v32, v34, v32
	v_add_f32_e32 v34, v13, v11
	v_sub_f32_e32 v11, v13, v11
	v_add_f32_e32 v41, v23, v19
	v_add_f32_e32 v13, v69, v72
	;; [unrolled: 1-line block ×3, first 2 shown]
	v_dual_add_f32 v18, v56, v66 :: v_dual_sub_f32 v37, v69, v72
	v_dual_sub_f32 v20, v56, v66 :: v_dual_sub_f32 v43, v23, v19
	v_sub_f32_e32 v31, v62, v60
	v_dual_add_f32 v22, v58, v64 :: v_dual_sub_f32 v35, v68, v73
	v_add_f32_e32 v48, v13, v33
	v_sub_f32_e32 v50, v13, v33
	v_dual_sub_f32 v33, v33, v17 :: v_dual_sub_f32 v24, v58, v64
	v_sub_f32_e32 v19, v19, v30
	v_dual_sub_f32 v40, v71, v70 :: v_dual_sub_f32 v13, v17, v13
	v_add_f32_e32 v16, v22, v18
	s_delay_alu instid0(VALU_DEP_4) | instskip(NEXT) | instid1(VALU_DEP_4)
	v_dual_sub_f32 v23, v30, v23 :: v_dual_add_f32 v44, v31, v24
	v_dual_mul_f32 v19, 0x3f4a47b2, v19 :: v_dual_sub_f32 v46, v31, v24
	v_sub_f32_e32 v31, v20, v31
	v_add_f32_e32 v49, v36, v34
	v_dual_add_f32 v45, v32, v28 :: v_dual_sub_f32 v42, v22, v18
	v_dual_sub_f32 v18, v18, v29 :: v_dual_add_f32 v57, v15, v14
	v_sub_f32_e32 v47, v32, v28
	v_dual_sub_f32 v32, v21, v32 :: v_dual_sub_f32 v59, v15, v14
	v_sub_f32_e32 v22, v29, v22
	v_dual_sub_f32 v28, v28, v21 :: v_dual_add_f32 v17, v17, v48
	v_sub_f32_e32 v52, v36, v34
	v_dual_sub_f32 v36, v38, v36 :: v_dual_sub_f32 v15, v11, v15
	v_sub_f32_e32 v14, v14, v11
	v_dual_sub_f32 v58, v40, v37 :: v_dual_add_f32 v11, v57, v11
	v_dual_mul_f32 v57, 0x3f08b237, v59 :: v_dual_add_f32 v56, v40, v37
	v_sub_f32_e32 v37, v37, v35
	v_dual_add_f32 v16, v29, v16 :: v_dual_add_f32 v29, v30, v41
	v_sub_f32_e32 v24, v24, v20
	v_dual_sub_f32 v34, v34, v38 :: v_dual_mul_f32 v33, 0x3f4a47b2, v33
	v_dual_add_f32 v20, v44, v20 :: v_dual_add_f32 v27, v27, v17
	v_add_f32_e32 v21, v45, v21
	v_mul_f32_e32 v41, 0x3d64c772, v23
	v_mul_f32_e32 v45, 0x3f08b237, v47
	v_dual_mul_f32 v47, 0xbf5ff5aa, v28 :: v_dual_add_f32 v4, v4, v29
	v_fmamk_f32 v23, v23, 0x3d64c772, v19
	v_add_f32_e32 v51, v51, v16
	v_sub_f32_e32 v40, v35, v40
	v_mul_f32_e32 v30, 0x3d64c772, v22
	v_mul_f32_e32 v59, 0xbf5ff5aa, v14
	v_fma_f32 v41, 0x3f3bfb3b, v43, -v41
	v_fma_f32 v19, 0xbf3bfb3b, v43, -v19
	v_fmamk_f32 v43, v32, 0xbeae86e6, v45
	v_fma_f32 v28, 0xbf5ff5aa, v28, -v45
	v_fma_f32 v32, 0x3eae86e6, v32, -v47
	v_dual_fmamk_f32 v16, v16, 0xbf955555, v51 :: v_dual_fmamk_f32 v29, v29, 0xbf955555, v4
	v_mul_f32_e32 v18, 0x3f4a47b2, v18
	v_mul_f32_e32 v44, 0x3f08b237, v46
	;; [unrolled: 1-line block ×3, first 2 shown]
	v_dual_add_f32 v38, v38, v49 :: v_dual_fmamk_f32 v47, v15, 0xbeae86e6, v57
	v_mul_f32_e32 v46, 0xbf5ff5aa, v24
	v_mul_f32_e32 v49, 0x3d64c772, v36
	v_fma_f32 v14, 0xbf5ff5aa, v14, -v57
	s_delay_alu instid0(VALU_DEP_4) | instskip(SKIP_3) | instid1(VALU_DEP_3)
	v_add_f32_e32 v39, v39, v38
	v_fma_f32 v15, 0x3eae86e6, v15, -v59
	v_fmac_f32_e32 v43, 0xbee1c552, v21
	v_dual_fmac_f32 v28, 0xbee1c552, v21 :: v_dual_fmac_f32 v47, 0xbee1c552, v11
	v_dual_fmac_f32 v32, 0xbee1c552, v21 :: v_dual_fmac_f32 v15, 0xbee1c552, v11
	v_add_f32_e32 v21, v23, v29
	v_fma_f32 v24, 0xbf5ff5aa, v24, -v44
	v_dual_add_f32 v23, v41, v29 :: v_dual_fmamk_f32 v36, v36, 0x3d64c772, v34
	v_dual_mul_f32 v48, 0x3d64c772, v13 :: v_dual_fmamk_f32 v13, v13, 0x3d64c772, v33
	v_fma_f32 v30, 0x3f3bfb3b, v42, -v30
	v_fmamk_f32 v17, v17, 0xbf955555, v27
	v_dual_fmamk_f32 v22, v22, 0x3d64c772, v18 :: v_dual_add_f32 v35, v56, v35
	v_fma_f32 v33, 0xbf3bfb3b, v50, -v33
	v_fmac_f32_e32 v24, 0xbee1c552, v20
	s_delay_alu instid0(VALU_DEP_3) | instskip(SKIP_4) | instid1(VALU_DEP_4)
	v_dual_fmac_f32 v14, 0xbee1c552, v11 :: v_dual_add_f32 v11, v22, v16
	v_fma_f32 v18, 0xbf3bfb3b, v42, -v18
	v_add_f32_e32 v22, v30, v16
	v_fmamk_f32 v42, v31, 0xbeae86e6, v44
	v_fma_f32 v31, 0x3eae86e6, v31, -v46
	v_dual_add_f32 v41, v24, v23 :: v_dual_add_f32 v16, v18, v16
	v_dual_mul_f32 v56, 0x3f08b237, v58 :: v_dual_add_f32 v13, v13, v17
	s_delay_alu instid0(VALU_DEP_4) | instskip(NEXT) | instid1(VALU_DEP_4)
	v_fmac_f32_e32 v42, 0xbee1c552, v20
	v_fmac_f32_e32 v31, 0xbee1c552, v20
	v_fmamk_f32 v20, v38, 0xbf955555, v39
	v_fma_f32 v34, 0xbf3bfb3b, v52, -v34
	v_mul_f32_e32 v58, 0xbf5ff5aa, v37
	v_add_f32_e32 v18, v19, v29
	v_fmamk_f32 v46, v40, 0xbeae86e6, v56
	v_add_f32_e32 v29, v36, v20
	v_fma_f32 v44, 0x3f3bfb3b, v50, -v48
	v_fma_f32 v45, 0x3f3bfb3b, v52, -v49
	;; [unrolled: 1-line block ×3, first 2 shown]
	v_sub_f32_e32 v38, v22, v28
	v_add_f32_e32 v22, v28, v22
	v_add_f32_e32 v19, v44, v17
	v_add_f32_e32 v17, v33, v17
	v_add_f32_e32 v33, v34, v20
	v_fma_f32 v40, 0x3eae86e6, v40, -v58
	v_dual_fmac_f32 v37, 0xbee1c552, v35 :: v_dual_sub_f32 v28, v23, v24
	s_delay_alu instid0(VALU_DEP_2)
	v_fmac_f32_e32 v40, 0xbee1c552, v35
	v_add_f32_e32 v30, v45, v20
	v_add_f32_e32 v20, v43, v11
	v_sub_f32_e32 v11, v11, v43
	v_dual_fmac_f32 v46, 0xbee1c552, v35 :: v_dual_add_f32 v35, v32, v16
	v_sub_f32_e32 v16, v16, v32
	v_sub_f32_e32 v34, v21, v42
	v_add_f32_e32 v32, v42, v21
	v_add_f32_e32 v21, v15, v17
	v_sub_f32_e32 v43, v33, v40
	v_dual_sub_f32 v23, v19, v14 :: v_dual_add_f32 v14, v14, v19
	v_sub_f32_e32 v15, v17, v15
	v_dual_sub_f32 v36, v18, v31 :: v_dual_add_f32 v31, v31, v18
	v_dual_add_f32 v18, v47, v13 :: v_dual_sub_f32 v13, v13, v47
	ds_store_2addr_b32 v25, v51, v20 offset1:34
	ds_store_2addr_b32 v25, v35, v38 offset0:68 offset1:102
	ds_store_2addr_b32 v25, v22, v16 offset0:136 offset1:170
	;; [unrolled: 1-line block ×6, first 2 shown]
	global_wb scope:SCOPE_SE
	s_wait_dscnt 0x0
	s_barrier_signal -1
	s_barrier_wait -1
	global_inv scope:SCOPE_SE
	ds_load_2addr_b32 v[19:20], v55 offset0:110 offset1:144
	ds_load_2addr_b32 v[13:14], v25 offset0:34 offset1:68
	ds_load_2addr_b32 v[21:22], v54 offset0:50 offset1:84
	ds_load_2addr_b32 v[15:16], v25 offset0:102 offset1:136
	ds_load_2addr_b32 v[23:24], v54 offset0:118 offset1:152
	ds_load_2addr_b32 v[17:18], v25 offset0:170 offset1:204
	ds_load_b32 v11, v53
	ds_load_b32 v27, v25 offset:1768
	v_dual_sub_f32 v42, v29, v46 :: v_dual_add_f32 v29, v46, v29
	v_add_f32_e32 v33, v40, v33
	v_dual_add_f32 v35, v37, v30 :: v_dual_sub_f32 v30, v30, v37
	global_wb scope:SCOPE_SE
	s_wait_dscnt 0x0
	s_barrier_signal -1
	s_barrier_wait -1
	global_inv scope:SCOPE_SE
	ds_store_2addr_b32 v25, v4, v34 offset1:34
	ds_store_2addr_b32 v25, v36, v41 offset0:68 offset1:102
	ds_store_2addr_b32 v25, v28, v31 offset0:136 offset1:170
	;; [unrolled: 1-line block ×6, first 2 shown]
	global_wb scope:SCOPE_SE
	s_wait_dscnt 0x0
	s_barrier_signal -1
	s_barrier_wait -1
	global_inv scope:SCOPE_SE
	s_and_saveexec_b32 s0, vcc_lo
	s_cbranch_execz .LBB0_16
; %bb.15:
	v_dual_mov_b32 v4, v12 :: v_dual_add_nc_u32 v81, 0x200, v25
	v_mul_lo_u32 v12, s3, v5
	v_mul_lo_u32 v6, s2, v6
	v_mad_co_u64_u32 v[48:49], null, s16, v3, 0
	s_delay_alu instid0(VALU_DEP_4) | instskip(SKIP_3) | instid1(VALU_DEP_4)
	v_lshlrev_b64_e32 v[28:29], 3, v[3:4]
	v_mad_co_u64_u32 v[4:5], null, s2, v5, 0
	v_add_nc_u32_e32 v63, 0xee, v3
	v_mad_co_u64_u32 v[50:51], null, s16, v26, 0
	v_add_co_u32 v28, vcc_lo, s8, v28
	s_wait_alu 0xfffd
	v_add_co_ci_u32_e32 v29, vcc_lo, s9, v29, vcc_lo
	v_mul_hi_u32 v58, 0x44d72045, v7
	v_mul_hi_u32 v59, 0x44d72045, v0
	s_clause 0x6
	global_load_b64 v[30:31], v[28:29], off offset:3400
	global_load_b64 v[32:33], v[28:29], off offset:3128
	;; [unrolled: 1-line block ×7, first 2 shown]
	ds_load_2addr_b32 v[42:43], v25 offset0:170 offset1:204
	ds_load_2addr_b32 v[44:45], v25 offset0:102 offset1:136
	;; [unrolled: 1-line block ×3, first 2 shown]
	ds_load_b32 v82, v25 offset:1768
	ds_load_b32 v83, v53
	v_add3_u32 v5, v5, v6, v12
	v_mov_b32_e32 v6, v49
	v_mad_co_u64_u32 v[54:55], null, s16, v63, 0
	v_add_nc_u32_e32 v78, 0x400, v25
	v_mul_hi_u32 v25, 0x44d72045, v8
	v_mul_hi_u32 v60, 0x44d72045, v10
	v_mov_b32_e32 v12, v51
	v_lshrrev_b32_e32 v51, 6, v58
	v_lshrrev_b32_e32 v62, 6, v59
	v_mad_co_u64_u32 v[58:59], null, s17, v3, v[6:7]
	v_add_nc_u32_e32 v64, 0x110, v3
	v_lshrrev_b32_e32 v49, 6, v25
	v_mul_hi_u32 v61, 0x44d72045, v9
	v_lshrrev_b32_e32 v65, 6, v60
	v_lshlrev_b64_e32 v[1:2], 3, v[1:2]
	v_lshlrev_b64_e32 v[3:4], 3, v[4:5]
	v_mad_co_u64_u32 v[59:60], null, 0xee, v49, v[8:9]
	v_mov_b32_e32 v49, v58
	v_mad_co_u64_u32 v[56:57], null, s16, v64, 0
	v_mad_co_u64_u32 v[7:8], null, 0xee, v51, v[7:8]
	v_lshrrev_b32_e32 v66, 6, v61
	v_mov_b32_e32 v5, v55
	v_mad_co_u64_u32 v[25:26], null, s17, v26, v[12:13]
	v_mov_b32_e32 v6, v57
	v_mad_co_u64_u32 v[60:61], null, 0xee, v62, v[0:1]
	v_add_nc_u32_e32 v75, 0xee, v7
	v_mad_co_u64_u32 v[8:9], null, 0xee, v66, v[9:10]
	v_mad_co_u64_u32 v[61:62], null, 0xee, v65, v[10:11]
	;; [unrolled: 1-line block ×4, first 2 shown]
	v_add_co_u32 v0, vcc_lo, s6, v3
	s_wait_alu 0xfffd
	v_add_co_ci_u32_e32 v6, vcc_lo, s7, v4, vcc_lo
	v_mov_b32_e32 v51, v25
	v_mad_co_u64_u32 v[3:4], null, s16, v59, 0
	v_dual_mov_b32 v55, v9 :: v_dual_add_nc_u32 v74, 0xee, v59
	v_mad_co_u64_u32 v[25:26], null, s16, v7, 0
	v_add_co_u32 v84, vcc_lo, v0, v1
	v_dual_mov_b32 v57, v5 :: v_dual_add_nc_u32 v76, 0xee, v60
	v_mad_co_u64_u32 v[66:67], null, s16, v8, 0
	s_wait_alu 0xfffd
	v_add_co_ci_u32_e32 v85, vcc_lo, v6, v2, vcc_lo
	v_mad_co_u64_u32 v[5:6], null, s16, v74, 0
	v_mad_co_u64_u32 v[62:63], null, s16, v60, 0
	v_dual_mov_b32 v2, v4 :: v_dual_add_nc_u32 v77, 0xee, v61
	v_dual_mov_b32 v4, v26 :: v_dual_add_nc_u32 v79, 0xee, v8
	v_mad_co_u64_u32 v[64:65], null, s16, v61, 0
	v_lshlrev_b64_e32 v[0:1], 3, v[48:49]
	v_mad_co_u64_u32 v[48:49], null, s16, v75, 0
	s_delay_alu instid0(VALU_DEP_4)
	v_mad_co_u64_u32 v[72:73], null, s17, v7, v[4:5]
	v_mov_b32_e32 v4, v67
	v_mov_b32_e32 v12, v63
	v_mad_co_u64_u32 v[58:59], null, s17, v59, v[2:3]
	v_mov_b32_e32 v2, v65
	v_lshlrev_b64_e32 v[9:10], 3, v[50:51]
	v_mad_co_u64_u32 v[50:51], null, s16, v76, 0
	v_mad_co_u64_u32 v[7:8], null, s17, v8, v[4:5]
	;; [unrolled: 1-line block ×6, first 2 shown]
	v_mov_b32_e32 v2, v49
	v_mov_b32_e32 v4, v51
	v_mad_co_u64_u32 v[73:74], null, s17, v74, v[6:7]
	ds_load_2addr_b32 v[52:53], v78 offset0:118 offset1:152
	v_mov_b32_e32 v6, v69
	v_mad_co_u64_u32 v[74:75], null, s17, v75, v[2:3]
	v_mov_b32_e32 v2, v71
	v_mad_co_u64_u32 v[75:76], null, s17, v76, v[4:5]
	v_add_co_u32 v0, vcc_lo, v84, v0
	v_lshlrev_b64_e32 v[54:55], 3, v[54:55]
	v_mad_co_u64_u32 v[76:77], null, s17, v77, v[6:7]
	v_mad_co_u64_u32 v[79:80], null, s17, v79, v[2:3]
	ds_load_2addr_b32 v[77:78], v78 offset0:50 offset1:84
	ds_load_2addr_b32 v[80:81], v81 offset0:110 offset1:144
	v_mov_b32_e32 v4, v58
	s_wait_alu 0xfffd
	v_add_co_ci_u32_e32 v1, vcc_lo, v85, v1, vcc_lo
	v_add_co_u32 v9, vcc_lo, v84, v9
	v_lshlrev_b64_e32 v[56:57], 3, v[56:57]
	v_mov_b32_e32 v26, v72
	s_wait_alu 0xfffd
	v_add_co_ci_u32_e32 v10, vcc_lo, v85, v10, vcc_lo
	v_add_co_u32 v54, vcc_lo, v84, v54
	v_lshlrev_b64_e32 v[2:3], 3, v[3:4]
	v_mov_b32_e32 v63, v59
	s_wait_alu 0xfffd
	v_add_co_ci_u32_e32 v55, vcc_lo, v85, v55, vcc_lo
	v_add_co_u32 v56, vcc_lo, v84, v56
	v_mov_b32_e32 v67, v7
	v_lshlrev_b64_e32 v[7:8], 3, v[25:26]
	v_dual_mov_b32 v65, v60 :: v_dual_mov_b32 v6, v73
	s_wait_alu 0xfffd
	v_add_co_ci_u32_e32 v57, vcc_lo, v85, v57, vcc_lo
	v_lshlrev_b64_e32 v[25:26], 3, v[62:63]
	v_add_co_u32 v2, vcc_lo, v84, v2
	s_wait_alu 0xfffd
	v_add_co_ci_u32_e32 v3, vcc_lo, v85, v3, vcc_lo
	v_lshlrev_b64_e32 v[58:59], 3, v[64:65]
	v_lshlrev_b64_e32 v[60:61], 3, v[66:67]
	v_mov_b32_e32 v69, v76
	v_mov_b32_e32 v71, v79
	;; [unrolled: 1-line block ×4, first 2 shown]
	s_delay_alu instid0(VALU_DEP_4) | instskip(NEXT) | instid1(VALU_DEP_4)
	v_lshlrev_b64_e32 v[62:63], 3, v[68:69]
	v_lshlrev_b64_e32 v[64:65], 3, v[70:71]
	s_delay_alu instid0(VALU_DEP_4) | instskip(NEXT) | instid1(VALU_DEP_4)
	v_lshlrev_b64_e32 v[48:49], 3, v[48:49]
	v_lshlrev_b64_e32 v[50:51], 3, v[50:51]
	s_wait_loadcnt_dscnt 0x604
	v_mul_f32_e32 v12, v82, v31
	s_wait_loadcnt 0x4
	v_mul_f32_e32 v66, v23, v35
	s_wait_dscnt 0x2
	v_mul_f32_e32 v35, v52, v35
	v_lshlrev_b64_e32 v[4:5], 3, v[5:6]
	v_add_co_u32 v6, vcc_lo, v84, v7
	s_wait_alu 0xfffd
	v_add_co_ci_u32_e32 v7, vcc_lo, v85, v8, vcc_lo
	v_add_co_u32 v25, vcc_lo, v84, v25
	s_wait_alu 0xfffd
	v_add_co_ci_u32_e32 v26, vcc_lo, v85, v26, vcc_lo
	v_add_co_u32 v58, vcc_lo, v84, v58
	s_wait_loadcnt 0x3
	v_dual_mul_f32 v8, v27, v31 :: v_dual_mul_f32 v67, v22, v37
	v_mul_f32_e32 v31, v24, v33
	v_mul_f32_e32 v33, v53, v33
	s_wait_loadcnt_dscnt 0x0
	v_dual_mul_f32 v68, v21, v39 :: v_dual_mul_f32 v71, v80, v29
	v_dual_mul_f32 v39, v77, v39 :: v_dual_mul_f32 v70, v19, v29
	v_mul_f32_e32 v69, v20, v41
	s_wait_alu 0xfffd
	v_add_co_ci_u32_e32 v59, vcc_lo, v85, v59, vcc_lo
	v_dual_mul_f32 v41, v81, v41 :: v_dual_fmac_f32 v12, v27, v30
	v_add_co_u32 v60, vcc_lo, v84, v60
	s_wait_alu 0xfffd
	v_add_co_ci_u32_e32 v61, vcc_lo, v85, v61, vcc_lo
	v_mul_f32_e32 v37, v78, v37
	v_fma_f32 v27, v53, v32, -v31
	v_fmac_f32_e32 v33, v24, v32
	v_fma_f32 v24, v52, v34, -v66
	v_fmac_f32_e32 v35, v23, v34
	v_fma_f32 v31, v81, v40, -v69
	v_fma_f32 v34, v80, v28, -v70
	v_fmac_f32_e32 v71, v19, v28
	v_add_co_u32 v4, vcc_lo, v84, v4
	s_delay_alu instid0(VALU_DEP_4)
	v_sub_f32_e32 v32, v46, v31
	v_fma_f32 v8, v82, v30, -v8
	v_fma_f32 v30, v77, v38, -v68
	v_fmac_f32_e32 v41, v20, v40
	s_wait_alu 0xfffd
	v_add_co_ci_u32_e32 v5, vcc_lo, v85, v5, vcc_lo
	v_add_co_u32 v48, vcc_lo, v84, v48
	v_sub_f32_e32 v30, v47, v30
	v_fma_f32 v29, v78, v36, -v67
	v_dual_fmac_f32 v39, v21, v38 :: v_dual_sub_f32 v20, v43, v8
	v_fmac_f32_e32 v37, v22, v36
	v_dual_sub_f32 v19, v18, v12 :: v_dual_sub_f32 v34, v83, v34
	v_dual_sub_f32 v22, v42, v27 :: v_dual_sub_f32 v21, v17, v33
	v_sub_f32_e32 v33, v11, v71
	s_wait_alu 0xfffd
	v_add_co_ci_u32_e32 v49, vcc_lo, v85, v49, vcc_lo
	v_add_co_u32 v50, vcc_lo, v84, v50
	v_sub_f32_e32 v31, v13, v41
	s_wait_alu 0xfffd
	v_add_co_ci_u32_e32 v51, vcc_lo, v85, v51, vcc_lo
	v_dual_sub_f32 v28, v44, v29 :: v_dual_sub_f32 v29, v14, v39
	v_add_co_u32 v62, vcc_lo, v84, v62
	v_dual_sub_f32 v24, v45, v24 :: v_dual_sub_f32 v23, v16, v35
	v_sub_f32_e32 v27, v15, v37
	v_fma_f32 v12, v83, 2.0, -v34
	v_fma_f32 v11, v11, 2.0, -v33
	s_wait_alu 0xfffd
	v_add_co_ci_u32_e32 v63, vcc_lo, v85, v63, vcc_lo
	v_fma_f32 v40, v46, 2.0, -v32
	v_fma_f32 v39, v13, 2.0, -v31
	v_add_co_u32 v64, vcc_lo, v84, v64
	v_fma_f32 v35, v18, 2.0, -v19
	v_fma_f32 v18, v42, 2.0, -v22
	;; [unrolled: 1-line block ×4, first 2 shown]
	s_wait_alu 0xfffd
	v_add_co_ci_u32_e32 v65, vcc_lo, v85, v65, vcc_lo
	v_fma_f32 v36, v43, 2.0, -v20
	v_fma_f32 v17, v17, 2.0, -v21
	;; [unrolled: 1-line block ×6, first 2 shown]
	s_clause 0xd
	global_store_b64 v[0:1], v[11:12], off
	global_store_b64 v[54:55], v[33:34], off
	;; [unrolled: 1-line block ×14, first 2 shown]
.LBB0_16:
	s_nop 0
	s_sendmsg sendmsg(MSG_DEALLOC_VGPRS)
	s_endpgm
	.section	.rodata,"a",@progbits
	.p2align	6, 0x0
	.amdhsa_kernel fft_rtc_back_len476_factors_17_2_7_2_wgs_102_tpt_34_halfLds_sp_op_CI_CI_sbrr_dirReg
		.amdhsa_group_segment_fixed_size 0
		.amdhsa_private_segment_fixed_size 0
		.amdhsa_kernarg_size 104
		.amdhsa_user_sgpr_count 2
		.amdhsa_user_sgpr_dispatch_ptr 0
		.amdhsa_user_sgpr_queue_ptr 0
		.amdhsa_user_sgpr_kernarg_segment_ptr 1
		.amdhsa_user_sgpr_dispatch_id 0
		.amdhsa_user_sgpr_private_segment_size 0
		.amdhsa_wavefront_size32 1
		.amdhsa_uses_dynamic_stack 0
		.amdhsa_enable_private_segment 0
		.amdhsa_system_sgpr_workgroup_id_x 1
		.amdhsa_system_sgpr_workgroup_id_y 0
		.amdhsa_system_sgpr_workgroup_id_z 0
		.amdhsa_system_sgpr_workgroup_info 0
		.amdhsa_system_vgpr_workitem_id 0
		.amdhsa_next_free_vgpr 86
		.amdhsa_next_free_sgpr 43
		.amdhsa_reserve_vcc 1
		.amdhsa_float_round_mode_32 0
		.amdhsa_float_round_mode_16_64 0
		.amdhsa_float_denorm_mode_32 3
		.amdhsa_float_denorm_mode_16_64 3
		.amdhsa_fp16_overflow 0
		.amdhsa_workgroup_processor_mode 1
		.amdhsa_memory_ordered 1
		.amdhsa_forward_progress 0
		.amdhsa_round_robin_scheduling 0
		.amdhsa_exception_fp_ieee_invalid_op 0
		.amdhsa_exception_fp_denorm_src 0
		.amdhsa_exception_fp_ieee_div_zero 0
		.amdhsa_exception_fp_ieee_overflow 0
		.amdhsa_exception_fp_ieee_underflow 0
		.amdhsa_exception_fp_ieee_inexact 0
		.amdhsa_exception_int_div_zero 0
	.end_amdhsa_kernel
	.text
.Lfunc_end0:
	.size	fft_rtc_back_len476_factors_17_2_7_2_wgs_102_tpt_34_halfLds_sp_op_CI_CI_sbrr_dirReg, .Lfunc_end0-fft_rtc_back_len476_factors_17_2_7_2_wgs_102_tpt_34_halfLds_sp_op_CI_CI_sbrr_dirReg
                                        ; -- End function
	.section	.AMDGPU.csdata,"",@progbits
; Kernel info:
; codeLenInByte = 12956
; NumSgprs: 45
; NumVgprs: 86
; ScratchSize: 0
; MemoryBound: 0
; FloatMode: 240
; IeeeMode: 1
; LDSByteSize: 0 bytes/workgroup (compile time only)
; SGPRBlocks: 5
; VGPRBlocks: 10
; NumSGPRsForWavesPerEU: 45
; NumVGPRsForWavesPerEU: 86
; Occupancy: 16
; WaveLimiterHint : 1
; COMPUTE_PGM_RSRC2:SCRATCH_EN: 0
; COMPUTE_PGM_RSRC2:USER_SGPR: 2
; COMPUTE_PGM_RSRC2:TRAP_HANDLER: 0
; COMPUTE_PGM_RSRC2:TGID_X_EN: 1
; COMPUTE_PGM_RSRC2:TGID_Y_EN: 0
; COMPUTE_PGM_RSRC2:TGID_Z_EN: 0
; COMPUTE_PGM_RSRC2:TIDIG_COMP_CNT: 0
	.text
	.p2alignl 7, 3214868480
	.fill 96, 4, 3214868480
	.type	__hip_cuid_1cfbdc2051da7d60,@object ; @__hip_cuid_1cfbdc2051da7d60
	.section	.bss,"aw",@nobits
	.globl	__hip_cuid_1cfbdc2051da7d60
__hip_cuid_1cfbdc2051da7d60:
	.byte	0                               ; 0x0
	.size	__hip_cuid_1cfbdc2051da7d60, 1

	.ident	"AMD clang version 19.0.0git (https://github.com/RadeonOpenCompute/llvm-project roc-6.4.0 25133 c7fe45cf4b819c5991fe208aaa96edf142730f1d)"
	.section	".note.GNU-stack","",@progbits
	.addrsig
	.addrsig_sym __hip_cuid_1cfbdc2051da7d60
	.amdgpu_metadata
---
amdhsa.kernels:
  - .args:
      - .actual_access:  read_only
        .address_space:  global
        .offset:         0
        .size:           8
        .value_kind:     global_buffer
      - .offset:         8
        .size:           8
        .value_kind:     by_value
      - .actual_access:  read_only
        .address_space:  global
        .offset:         16
        .size:           8
        .value_kind:     global_buffer
      - .actual_access:  read_only
        .address_space:  global
        .offset:         24
        .size:           8
        .value_kind:     global_buffer
      - .actual_access:  read_only
        .address_space:  global
        .offset:         32
        .size:           8
        .value_kind:     global_buffer
      - .offset:         40
        .size:           8
        .value_kind:     by_value
      - .actual_access:  read_only
        .address_space:  global
        .offset:         48
        .size:           8
        .value_kind:     global_buffer
      - .actual_access:  read_only
        .address_space:  global
        .offset:         56
        .size:           8
        .value_kind:     global_buffer
      - .offset:         64
        .size:           4
        .value_kind:     by_value
      - .actual_access:  read_only
        .address_space:  global
        .offset:         72
        .size:           8
        .value_kind:     global_buffer
      - .actual_access:  read_only
        .address_space:  global
        .offset:         80
        .size:           8
        .value_kind:     global_buffer
      - .actual_access:  read_only
        .address_space:  global
        .offset:         88
        .size:           8
        .value_kind:     global_buffer
      - .actual_access:  write_only
        .address_space:  global
        .offset:         96
        .size:           8
        .value_kind:     global_buffer
    .group_segment_fixed_size: 0
    .kernarg_segment_align: 8
    .kernarg_segment_size: 104
    .language:       OpenCL C
    .language_version:
      - 2
      - 0
    .max_flat_workgroup_size: 102
    .name:           fft_rtc_back_len476_factors_17_2_7_2_wgs_102_tpt_34_halfLds_sp_op_CI_CI_sbrr_dirReg
    .private_segment_fixed_size: 0
    .sgpr_count:     45
    .sgpr_spill_count: 0
    .symbol:         fft_rtc_back_len476_factors_17_2_7_2_wgs_102_tpt_34_halfLds_sp_op_CI_CI_sbrr_dirReg.kd
    .uniform_work_group_size: 1
    .uses_dynamic_stack: false
    .vgpr_count:     86
    .vgpr_spill_count: 0
    .wavefront_size: 32
    .workgroup_processor_mode: 1
amdhsa.target:   amdgcn-amd-amdhsa--gfx1201
amdhsa.version:
  - 1
  - 2
...

	.end_amdgpu_metadata
